;; amdgpu-corpus repo=ROCm/rocFFT kind=compiled arch=gfx1201 opt=O3
	.text
	.amdgcn_target "amdgcn-amd-amdhsa--gfx1201"
	.amdhsa_code_object_version 6
	.protected	fft_rtc_fwd_len918_factors_17_9_2_3_wgs_102_tpt_102_halfLds_half_ip_CI_unitstride_sbrr_R2C_dirReg ; -- Begin function fft_rtc_fwd_len918_factors_17_9_2_3_wgs_102_tpt_102_halfLds_half_ip_CI_unitstride_sbrr_R2C_dirReg
	.globl	fft_rtc_fwd_len918_factors_17_9_2_3_wgs_102_tpt_102_halfLds_half_ip_CI_unitstride_sbrr_R2C_dirReg
	.p2align	8
	.type	fft_rtc_fwd_len918_factors_17_9_2_3_wgs_102_tpt_102_halfLds_half_ip_CI_unitstride_sbrr_R2C_dirReg,@function
fft_rtc_fwd_len918_factors_17_9_2_3_wgs_102_tpt_102_halfLds_half_ip_CI_unitstride_sbrr_R2C_dirReg: ; @fft_rtc_fwd_len918_factors_17_9_2_3_wgs_102_tpt_102_halfLds_half_ip_CI_unitstride_sbrr_R2C_dirReg
; %bb.0:
	s_clause 0x2
	s_load_b128 s[4:7], s[0:1], 0x0
	s_load_b64 s[8:9], s[0:1], 0x50
	s_load_b64 s[10:11], s[0:1], 0x18
	v_mul_u32_u24_e32 v1, 0x283, v0
	v_mov_b32_e32 v3, 0
	s_delay_alu instid0(VALU_DEP_2) | instskip(NEXT) | instid1(VALU_DEP_1)
	v_lshrrev_b32_e32 v1, 16, v1
	v_add_nc_u32_e32 v5, ttmp9, v1
	v_mov_b32_e32 v1, 0
	v_mov_b32_e32 v2, 0
	;; [unrolled: 1-line block ×3, first 2 shown]
	s_wait_kmcnt 0x0
	v_cmp_lt_u64_e64 s2, s[6:7], 2
	s_delay_alu instid0(VALU_DEP_1)
	s_and_b32 vcc_lo, exec_lo, s2
	s_cbranch_vccnz .LBB0_8
; %bb.1:
	s_load_b64 s[2:3], s[0:1], 0x10
	v_mov_b32_e32 v1, 0
	v_mov_b32_e32 v2, 0
	s_add_nc_u64 s[12:13], s[10:11], 8
	s_mov_b64 s[14:15], 1
	s_wait_kmcnt 0x0
	s_add_nc_u64 s[16:17], s[2:3], 8
	s_mov_b32 s3, 0
.LBB0_2:                                ; =>This Inner Loop Header: Depth=1
	s_load_b64 s[18:19], s[16:17], 0x0
                                        ; implicit-def: $vgpr7_vgpr8
	s_mov_b32 s2, exec_lo
	s_wait_kmcnt 0x0
	v_or_b32_e32 v4, s19, v6
	s_delay_alu instid0(VALU_DEP_1)
	v_cmpx_ne_u64_e32 0, v[3:4]
	s_wait_alu 0xfffe
	s_xor_b32 s20, exec_lo, s2
	s_cbranch_execz .LBB0_4
; %bb.3:                                ;   in Loop: Header=BB0_2 Depth=1
	s_cvt_f32_u32 s2, s18
	s_cvt_f32_u32 s21, s19
	s_sub_nc_u64 s[24:25], 0, s[18:19]
	s_wait_alu 0xfffe
	s_delay_alu instid0(SALU_CYCLE_1) | instskip(SKIP_1) | instid1(SALU_CYCLE_2)
	s_fmamk_f32 s2, s21, 0x4f800000, s2
	s_wait_alu 0xfffe
	v_s_rcp_f32 s2, s2
	s_delay_alu instid0(TRANS32_DEP_1) | instskip(SKIP_1) | instid1(SALU_CYCLE_2)
	s_mul_f32 s2, s2, 0x5f7ffffc
	s_wait_alu 0xfffe
	s_mul_f32 s21, s2, 0x2f800000
	s_wait_alu 0xfffe
	s_delay_alu instid0(SALU_CYCLE_2) | instskip(SKIP_1) | instid1(SALU_CYCLE_2)
	s_trunc_f32 s21, s21
	s_wait_alu 0xfffe
	s_fmamk_f32 s2, s21, 0xcf800000, s2
	s_cvt_u32_f32 s23, s21
	s_wait_alu 0xfffe
	s_delay_alu instid0(SALU_CYCLE_1) | instskip(SKIP_1) | instid1(SALU_CYCLE_2)
	s_cvt_u32_f32 s22, s2
	s_wait_alu 0xfffe
	s_mul_u64 s[26:27], s[24:25], s[22:23]
	s_wait_alu 0xfffe
	s_mul_hi_u32 s29, s22, s27
	s_mul_i32 s28, s22, s27
	s_mul_hi_u32 s2, s22, s26
	s_mul_i32 s30, s23, s26
	s_wait_alu 0xfffe
	s_add_nc_u64 s[28:29], s[2:3], s[28:29]
	s_mul_hi_u32 s21, s23, s26
	s_mul_hi_u32 s31, s23, s27
	s_add_co_u32 s2, s28, s30
	s_wait_alu 0xfffe
	s_add_co_ci_u32 s2, s29, s21
	s_mul_i32 s26, s23, s27
	s_add_co_ci_u32 s27, s31, 0
	s_wait_alu 0xfffe
	s_add_nc_u64 s[26:27], s[2:3], s[26:27]
	s_wait_alu 0xfffe
	v_add_co_u32 v4, s2, s22, s26
	s_delay_alu instid0(VALU_DEP_1) | instskip(SKIP_1) | instid1(VALU_DEP_1)
	s_cmp_lg_u32 s2, 0
	s_add_co_ci_u32 s23, s23, s27
	v_readfirstlane_b32 s22, v4
	s_wait_alu 0xfffe
	s_delay_alu instid0(VALU_DEP_1)
	s_mul_u64 s[24:25], s[24:25], s[22:23]
	s_wait_alu 0xfffe
	s_mul_hi_u32 s27, s22, s25
	s_mul_i32 s26, s22, s25
	s_mul_hi_u32 s2, s22, s24
	s_mul_i32 s28, s23, s24
	s_wait_alu 0xfffe
	s_add_nc_u64 s[26:27], s[2:3], s[26:27]
	s_mul_hi_u32 s21, s23, s24
	s_mul_hi_u32 s22, s23, s25
	s_wait_alu 0xfffe
	s_add_co_u32 s2, s26, s28
	s_add_co_ci_u32 s2, s27, s21
	s_mul_i32 s24, s23, s25
	s_add_co_ci_u32 s25, s22, 0
	s_wait_alu 0xfffe
	s_add_nc_u64 s[24:25], s[2:3], s[24:25]
	s_wait_alu 0xfffe
	v_add_co_u32 v4, s2, v4, s24
	s_delay_alu instid0(VALU_DEP_1) | instskip(SKIP_1) | instid1(VALU_DEP_1)
	s_cmp_lg_u32 s2, 0
	s_add_co_ci_u32 s2, s23, s25
	v_mul_hi_u32 v13, v5, v4
	s_wait_alu 0xfffe
	v_mad_co_u64_u32 v[7:8], null, v5, s2, 0
	v_mad_co_u64_u32 v[9:10], null, v6, v4, 0
	;; [unrolled: 1-line block ×3, first 2 shown]
	s_delay_alu instid0(VALU_DEP_3) | instskip(SKIP_1) | instid1(VALU_DEP_4)
	v_add_co_u32 v4, vcc_lo, v13, v7
	s_wait_alu 0xfffd
	v_add_co_ci_u32_e32 v7, vcc_lo, 0, v8, vcc_lo
	s_delay_alu instid0(VALU_DEP_2) | instskip(SKIP_1) | instid1(VALU_DEP_2)
	v_add_co_u32 v4, vcc_lo, v4, v9
	s_wait_alu 0xfffd
	v_add_co_ci_u32_e32 v4, vcc_lo, v7, v10, vcc_lo
	s_wait_alu 0xfffd
	v_add_co_ci_u32_e32 v7, vcc_lo, 0, v12, vcc_lo
	s_delay_alu instid0(VALU_DEP_2) | instskip(SKIP_1) | instid1(VALU_DEP_2)
	v_add_co_u32 v4, vcc_lo, v4, v11
	s_wait_alu 0xfffd
	v_add_co_ci_u32_e32 v9, vcc_lo, 0, v7, vcc_lo
	s_delay_alu instid0(VALU_DEP_2) | instskip(SKIP_1) | instid1(VALU_DEP_3)
	v_mul_lo_u32 v10, s19, v4
	v_mad_co_u64_u32 v[7:8], null, s18, v4, 0
	v_mul_lo_u32 v11, s18, v9
	s_delay_alu instid0(VALU_DEP_2) | instskip(NEXT) | instid1(VALU_DEP_2)
	v_sub_co_u32 v7, vcc_lo, v5, v7
	v_add3_u32 v8, v8, v11, v10
	s_delay_alu instid0(VALU_DEP_1) | instskip(SKIP_1) | instid1(VALU_DEP_1)
	v_sub_nc_u32_e32 v10, v6, v8
	s_wait_alu 0xfffd
	v_subrev_co_ci_u32_e64 v10, s2, s19, v10, vcc_lo
	v_add_co_u32 v11, s2, v4, 2
	s_wait_alu 0xf1ff
	v_add_co_ci_u32_e64 v12, s2, 0, v9, s2
	v_sub_co_u32 v13, s2, v7, s18
	v_sub_co_ci_u32_e32 v8, vcc_lo, v6, v8, vcc_lo
	s_wait_alu 0xf1ff
	v_subrev_co_ci_u32_e64 v10, s2, 0, v10, s2
	s_delay_alu instid0(VALU_DEP_3) | instskip(NEXT) | instid1(VALU_DEP_3)
	v_cmp_le_u32_e32 vcc_lo, s18, v13
	v_cmp_eq_u32_e64 s2, s19, v8
	s_wait_alu 0xfffd
	v_cndmask_b32_e64 v13, 0, -1, vcc_lo
	v_cmp_le_u32_e32 vcc_lo, s19, v10
	s_wait_alu 0xfffd
	v_cndmask_b32_e64 v14, 0, -1, vcc_lo
	v_cmp_le_u32_e32 vcc_lo, s18, v7
	;; [unrolled: 3-line block ×3, first 2 shown]
	s_wait_alu 0xfffd
	v_cndmask_b32_e64 v15, 0, -1, vcc_lo
	v_cmp_eq_u32_e32 vcc_lo, s19, v10
	s_wait_alu 0xf1ff
	s_delay_alu instid0(VALU_DEP_2)
	v_cndmask_b32_e64 v7, v15, v7, s2
	s_wait_alu 0xfffd
	v_cndmask_b32_e32 v10, v14, v13, vcc_lo
	v_add_co_u32 v13, vcc_lo, v4, 1
	s_wait_alu 0xfffd
	v_add_co_ci_u32_e32 v14, vcc_lo, 0, v9, vcc_lo
	s_delay_alu instid0(VALU_DEP_3) | instskip(SKIP_2) | instid1(VALU_DEP_3)
	v_cmp_ne_u32_e32 vcc_lo, 0, v10
	s_wait_alu 0xfffd
	v_cndmask_b32_e32 v10, v13, v11, vcc_lo
	v_cndmask_b32_e32 v8, v14, v12, vcc_lo
	v_cmp_ne_u32_e32 vcc_lo, 0, v7
	s_wait_alu 0xfffd
	s_delay_alu instid0(VALU_DEP_2)
	v_dual_cndmask_b32 v7, v4, v10 :: v_dual_cndmask_b32 v8, v9, v8
.LBB0_4:                                ;   in Loop: Header=BB0_2 Depth=1
	s_wait_alu 0xfffe
	s_and_not1_saveexec_b32 s2, s20
	s_cbranch_execz .LBB0_6
; %bb.5:                                ;   in Loop: Header=BB0_2 Depth=1
	v_cvt_f32_u32_e32 v4, s18
	s_sub_co_i32 s20, 0, s18
	s_delay_alu instid0(VALU_DEP_1) | instskip(NEXT) | instid1(TRANS32_DEP_1)
	v_rcp_iflag_f32_e32 v4, v4
	v_mul_f32_e32 v4, 0x4f7ffffe, v4
	s_delay_alu instid0(VALU_DEP_1) | instskip(SKIP_1) | instid1(VALU_DEP_1)
	v_cvt_u32_f32_e32 v4, v4
	s_wait_alu 0xfffe
	v_mul_lo_u32 v7, s20, v4
	s_delay_alu instid0(VALU_DEP_1) | instskip(NEXT) | instid1(VALU_DEP_1)
	v_mul_hi_u32 v7, v4, v7
	v_add_nc_u32_e32 v4, v4, v7
	s_delay_alu instid0(VALU_DEP_1) | instskip(NEXT) | instid1(VALU_DEP_1)
	v_mul_hi_u32 v4, v5, v4
	v_mul_lo_u32 v7, v4, s18
	v_add_nc_u32_e32 v8, 1, v4
	s_delay_alu instid0(VALU_DEP_2) | instskip(NEXT) | instid1(VALU_DEP_1)
	v_sub_nc_u32_e32 v7, v5, v7
	v_subrev_nc_u32_e32 v9, s18, v7
	v_cmp_le_u32_e32 vcc_lo, s18, v7
	s_wait_alu 0xfffd
	s_delay_alu instid0(VALU_DEP_2) | instskip(NEXT) | instid1(VALU_DEP_1)
	v_dual_cndmask_b32 v7, v7, v9 :: v_dual_cndmask_b32 v4, v4, v8
	v_cmp_le_u32_e32 vcc_lo, s18, v7
	s_delay_alu instid0(VALU_DEP_2) | instskip(SKIP_1) | instid1(VALU_DEP_1)
	v_add_nc_u32_e32 v8, 1, v4
	s_wait_alu 0xfffd
	v_dual_cndmask_b32 v7, v4, v8 :: v_dual_mov_b32 v8, v3
.LBB0_6:                                ;   in Loop: Header=BB0_2 Depth=1
	s_wait_alu 0xfffe
	s_or_b32 exec_lo, exec_lo, s2
	s_load_b64 s[20:21], s[12:13], 0x0
	s_delay_alu instid0(VALU_DEP_1)
	v_mul_lo_u32 v4, v8, s18
	v_mul_lo_u32 v11, v7, s19
	v_mad_co_u64_u32 v[9:10], null, v7, s18, 0
	s_add_nc_u64 s[14:15], s[14:15], 1
	s_add_nc_u64 s[12:13], s[12:13], 8
	s_wait_alu 0xfffe
	v_cmp_ge_u64_e64 s2, s[14:15], s[6:7]
	s_add_nc_u64 s[16:17], s[16:17], 8
	s_delay_alu instid0(VALU_DEP_2) | instskip(NEXT) | instid1(VALU_DEP_3)
	v_add3_u32 v4, v10, v11, v4
	v_sub_co_u32 v5, vcc_lo, v5, v9
	s_wait_alu 0xfffd
	s_delay_alu instid0(VALU_DEP_2) | instskip(SKIP_3) | instid1(VALU_DEP_2)
	v_sub_co_ci_u32_e32 v4, vcc_lo, v6, v4, vcc_lo
	s_and_b32 vcc_lo, exec_lo, s2
	s_wait_kmcnt 0x0
	v_mul_lo_u32 v6, s21, v5
	v_mul_lo_u32 v4, s20, v4
	v_mad_co_u64_u32 v[1:2], null, s20, v5, v[1:2]
	s_delay_alu instid0(VALU_DEP_1)
	v_add3_u32 v2, v6, v2, v4
	s_wait_alu 0xfffe
	s_cbranch_vccnz .LBB0_9
; %bb.7:                                ;   in Loop: Header=BB0_2 Depth=1
	v_dual_mov_b32 v5, v7 :: v_dual_mov_b32 v6, v8
	s_branch .LBB0_2
.LBB0_8:
	v_dual_mov_b32 v8, v6 :: v_dual_mov_b32 v7, v5
.LBB0_9:
	s_lshl_b64 s[2:3], s[6:7], 3
	v_mul_hi_u32 v3, 0x2828283, v0
	s_wait_alu 0xfffe
	s_add_nc_u64 s[2:3], s[10:11], s[2:3]
	s_load_b64 s[2:3], s[2:3], 0x0
	s_load_b64 s[0:1], s[0:1], 0x20
	s_delay_alu instid0(VALU_DEP_1) | instskip(NEXT) | instid1(VALU_DEP_1)
	v_mul_u32_u24_e32 v3, 0x66, v3
	v_sub_nc_u32_e32 v0, v0, v3
	s_delay_alu instid0(VALU_DEP_1)
	v_lshl_add_u32 v20, v0, 2, 0
	s_wait_kmcnt 0x0
	v_mul_lo_u32 v4, s2, v8
	v_mul_lo_u32 v5, s3, v7
	v_mad_co_u64_u32 v[1:2], null, s2, v7, v[1:2]
	v_cmp_gt_u64_e32 vcc_lo, s[0:1], v[7:8]
	s_delay_alu instid0(VALU_DEP_2) | instskip(NEXT) | instid1(VALU_DEP_1)
	v_add3_u32 v2, v5, v2, v4
	v_lshlrev_b64_e32 v[2:3], 2, v[1:2]
	s_and_saveexec_b32 s1, vcc_lo
	s_cbranch_execz .LBB0_11
; %bb.10:
	v_dual_mov_b32 v1, 0 :: v_dual_add_nc_u32 v14, 0x800, v20
	v_add_nc_u32_e32 v13, 0x400, v20
	s_delay_alu instid0(VALU_DEP_2) | instskip(SKIP_3) | instid1(VALU_DEP_2)
	v_lshlrev_b64_e32 v[4:5], 2, v[0:1]
	v_add_co_u32 v1, s0, s8, v2
	s_wait_alu 0xf1ff
	v_add_co_ci_u32_e64 v6, s0, s9, v3, s0
	v_add_co_u32 v4, s0, v1, v4
	s_wait_alu 0xf1ff
	s_delay_alu instid0(VALU_DEP_2)
	v_add_co_ci_u32_e64 v5, s0, v6, v5, s0
	s_clause 0x8
	global_load_b32 v1, v[4:5], off
	global_load_b32 v6, v[4:5], off offset:408
	global_load_b32 v7, v[4:5], off offset:816
	;; [unrolled: 1-line block ×8, first 2 shown]
	v_add_nc_u32_e32 v5, 0x200, v20
	s_wait_loadcnt 0x7
	ds_store_2addr_b32 v20, v1, v6 offset1:102
	s_wait_loadcnt 0x5
	ds_store_2addr_b32 v5, v7, v8 offset0:76 offset1:178
	s_wait_loadcnt 0x3
	ds_store_2addr_b32 v13, v9, v10 offset0:152 offset1:254
	s_wait_loadcnt 0x1
	ds_store_2addr_b32 v14, v11, v12 offset0:100 offset1:202
	s_wait_loadcnt 0x0
	ds_store_b32 v20, v4 offset:3264
.LBB0_11:
	s_wait_alu 0xfffe
	s_or_b32 exec_lo, exec_lo, s1
	v_add_nc_u32_e32 v4, 0xa00, v20
	global_wb scope:SCOPE_SE
	s_wait_dscnt 0x0
	s_barrier_signal -1
	s_barrier_wait -1
	global_inv scope:SCOPE_SE
	ds_load_2addr_b32 v[6:7], v20 offset1:54
	ds_load_2addr_b32 v[4:5], v4 offset0:116 offset1:170
	ds_load_b32 v25, v20 offset:3456
	ds_load_2addr_b32 v[18:19], v20 offset0:108 offset1:162
	v_add_nc_u32_e32 v1, 0x800, v20
	v_add_nc_u32_e32 v23, 0x200, v20
	;; [unrolled: 1-line block ×3, first 2 shown]
	ds_load_2addr_b32 v[8:9], v1 offset0:136 offset1:190
	ds_load_2addr_b32 v[16:17], v23 offset0:88 offset1:142
	;; [unrolled: 1-line block ×5, first 2 shown]
	s_mov_b32 s1, exec_lo
	global_wb scope:SCOPE_SE
	s_wait_dscnt 0x0
	s_barrier_signal -1
	s_barrier_wait -1
	global_inv scope:SCOPE_SE
	v_lshrrev_b32_e32 v51, 16, v6
	v_pk_add_f16 v39, v7, v25 neg_lo:[0,1] neg_hi:[0,1]
	v_pk_add_f16 v34, v25, v7
	v_pk_add_f16 v40, v18, v5 neg_lo:[0,1] neg_hi:[0,1]
	v_pk_add_f16 v33, v5, v18
	v_pk_add_f16 v37, v19, v4 neg_lo:[0,1] neg_hi:[0,1]
	v_pk_mul_f16 v21, 0xb1e1, v39 op_sel_hi:[0,1]
	v_pk_add_f16 v32, v4, v19
	v_pk_mul_f16 v22, 0x35c8, v40 op_sel_hi:[0,1]
	v_pk_add_f16 v38, v16, v9 neg_lo:[0,1] neg_hi:[0,1]
	v_pk_mul_f16 v45, 0xb836, v37 op_sel_hi:[0,1]
	v_pk_fma_f16 v42, 0xbbdd, v34, v21 op_sel:[0,0,1] op_sel_hi:[0,1,0] neg_lo:[0,0,1] neg_hi:[0,0,1]
	v_pk_fma_f16 v43, 0xbbdd, v34, v21 op_sel:[0,0,1] op_sel_hi:[0,1,0]
	v_pk_fma_f16 v52, 0x3b76, v33, v22 op_sel:[0,0,1] op_sel_hi:[0,1,0] neg_lo:[0,0,1] neg_hi:[0,0,1]
	v_pk_add_f16 v31, v9, v16
	v_pk_add_f16 v36, v17, v8 neg_lo:[0,1] neg_hi:[0,1]
	v_lshrrev_b32_e32 v21, 16, v42
	v_pk_fma_f16 v54, 0x3b76, v33, v22 op_sel:[0,0,1] op_sel_hi:[0,1,0]
	v_add_f16_e32 v22, v6, v43
	v_lshrrev_b32_e32 v46, 16, v52
	v_pk_fma_f16 v44, 0xbacd, v32, v45 op_sel:[0,0,1] op_sel_hi:[0,1,0] neg_lo:[0,0,1] neg_hi:[0,0,1]
	v_add_f16_e32 v21, v51, v21
	v_pk_mul_f16 v47, 0x3964, v38 op_sel_hi:[0,1]
	v_pk_add_f16 v29, v8, v17
	v_pk_add_f16 v41, v14, v11 neg_lo:[0,1] neg_hi:[0,1]
	v_pk_fma_f16 v55, 0xbacd, v32, v45 op_sel:[0,0,1] op_sel_hi:[0,1,0]
	v_add_f16_e32 v22, v54, v22
	v_add_f16_e32 v21, v46, v21
	v_lshrrev_b32_e32 v46, 16, v44
	v_pk_fma_f16 v45, 0x39e9, v31, v47 op_sel:[0,0,1] op_sel_hi:[0,1,0] neg_lo:[0,0,1] neg_hi:[0,0,1]
	v_pk_mul_f16 v48, 0xba62, v36 op_sel_hi:[0,1]
	v_pk_add_f16 v30, v11, v14
	v_pk_add_f16 v35, v15, v10 neg_lo:[0,1] neg_hi:[0,1]
	v_pk_fma_f16 v60, 0x39e9, v31, v47 op_sel:[0,0,1] op_sel_hi:[0,1,0]
	v_add_f16_e32 v22, v55, v22
	v_add_f16_e32 v21, v46, v21
	v_lshrrev_b32_e32 v47, 16, v45
	v_pk_fma_f16 v46, 0xb8d2, v29, v48 op_sel:[0,0,1] op_sel_hi:[0,1,0] neg_lo:[0,0,1] neg_hi:[0,0,1]
	;; [unrolled: 8-line block ×3, first 2 shown]
	v_pk_mul_f16 v48, 0xbbb2, v35 op_sel_hi:[0,1]
	v_pk_add_f16 v26, v13, v12
	v_pk_fma_f16 v58, 0x3722, v30, v50 op_sel:[0,0,1] op_sel_hi:[0,1,0]
	v_add_f16_e32 v22, v53, v22
	v_add_f16_e32 v21, v47, v21
	v_lshrrev_b32_e32 v50, 16, v49
	v_pk_fma_f16 v47, 0xb461, v27, v48 op_sel:[0,0,1] op_sel_hi:[0,1,0] neg_lo:[0,0,1] neg_hi:[0,0,1]
	v_pk_mul_f16 v56, 0x3bf7, v28 op_sel_hi:[0,1]
	v_pk_fma_f16 v59, 0xb461, v27, v48 op_sel:[0,0,1] op_sel_hi:[0,1,0]
	v_add_f16_e32 v22, v58, v22
	v_add_f16_e32 v21, v50, v21
	v_lshrrev_b32_e32 v57, 16, v47
	v_pk_fma_f16 v48, 0x2de8, v26, v56 op_sel:[0,0,1] op_sel_hi:[0,1,0] neg_lo:[0,0,1] neg_hi:[0,0,1]
	v_pk_fma_f16 v50, 0x2de8, v26, v56 op_sel:[0,0,1] op_sel_hi:[0,1,0]
	v_add_f16_e32 v22, v59, v22
	s_delay_alu instid0(VALU_DEP_4) | instskip(NEXT) | instid1(VALU_DEP_4)
	v_add_f16_e32 v56, v57, v21
	v_lshrrev_b32_e32 v57, 16, v48
	s_delay_alu instid0(VALU_DEP_3) | instskip(NEXT) | instid1(VALU_DEP_2)
	v_add_f16_e32 v21, v50, v22
	v_add_f16_e32 v22, v57, v56
	v_cmpx_gt_u32_e32 54, v0
	s_cbranch_execz .LBB0_13
; %bb.12:
	v_mul_f16_e32 v66, 0xb836, v39
	v_lshrrev_b32_e32 v57, 16, v34
	v_mul_f16_e32 v64, 0x3b29, v40
	v_lshrrev_b32_e32 v56, 16, v33
	v_bfi_b32 v42, 0xffff, v42, v43
	v_bfi_b32 v43, 0xffff, v52, v54
	v_fmamk_f16 v61, v57, 0xbacd, v66
	v_mul_f16_e32 v65, 0xbbf7, v37
	v_lshrrev_b32_e32 v54, 16, v32
	v_fmamk_f16 v52, v56, 0x3722, v64
	v_bfi_b32 v44, 0xffff, v44, v55
	v_add_f16_e32 v61, v51, v61
	v_mul_f16_e32 v67, 0x3a62, v38
	v_lshrrev_b32_e32 v55, 16, v31
	v_fmamk_f16 v62, v54, 0x2de8, v65
	v_bfi_b32 v45, 0xffff, v45, v60
	v_add_f16_e32 v63, v52, v61
	;; [unrolled: 5-line block ×3, first 2 shown]
	v_mul_f16_e32 v62, 0xb1e1, v41
	v_lshrrev_b32_e32 v53, 16, v30
	v_fmamk_f16 v68, v52, 0x3b76, v61
	v_lshrrev_b32_e32 v82, 16, v39
	v_add_f16_e32 v63, v60, v63
	v_lshrrev_b32_e32 v83, 16, v40
	v_fmamk_f16 v70, v53, 0xbbdd, v62
	v_bfi_b32 v47, 0xffff, v47, v59
	v_mul_f16_e32 v69, 0xb836, v82
	v_add_f16_e32 v63, v68, v63
	v_bfi_b32 v48, 0xffff, v48, v50
	v_lshrrev_b32_e32 v84, 16, v37
	v_lshrrev_b32_e32 v85, 16, v38
	v_fma_f16 v50, v34, 0xbacd, -v69
	v_add_f16_e32 v59, v70, v63
	v_mul_f16_e32 v70, 0x3b29, v83
	v_mul_f16_e32 v68, 0xbbf7, v84
	;; [unrolled: 1-line block ×3, first 2 shown]
	v_add_f16_e32 v50, v6, v50
	v_mul_f16_e32 v77, 0x3a62, v85
	v_fma_f16 v71, v33, 0x3722, -v70
	v_bfi_b32 v49, 0xffff, v49, v58
	v_mul_f16_e32 v60, 0x3964, v35
	v_lshrrev_b32_e32 v58, 16, v27
	v_fmamk_f16 v72, v57, 0xb8d2, v78
	v_add_f16_e32 v50, v71, v50
	v_fma_f16 v71, v32, 0x2de8, -v68
	v_mul_f16_e32 v79, 0x3bb2, v40
	v_lshrrev_b32_e32 v86, 16, v36
	v_fmamk_f16 v63, v58, 0x39e9, v60
	v_add_f16_e32 v72, v51, v72
	v_add_f16_e32 v50, v71, v50
	v_fma_f16 v71, v31, 0xb8d2, -v77
	v_fmamk_f16 v73, v56, 0xb461, v79
	v_lshrrev_b32_e32 v88, 16, v41
	v_add_f16_e32 v81, v63, v59
	v_mul_f16_e32 v63, 0xbbb2, v28
	v_add_f16_e32 v50, v71, v50
	v_mul_f16_e32 v71, 0xb5c8, v86
	v_lshrrev_b32_e32 v59, 16, v26
	v_mul_f16_e32 v80, 0xb5c8, v37
	v_add_f16_e32 v73, v73, v72
	v_mul_f16_e32 v72, 0xb1e1, v88
	v_fma_f16 v76, v29, 0x3b76, -v71
	v_fmamk_f16 v87, v59, 0xb461, v63
	v_fmamk_f16 v75, v54, 0x3b76, v80
	v_mul_f16_e32 v74, 0xb836, v38
	v_lshrrev_b32_e32 v89, 16, v35
	v_add_f16_e32 v92, v76, v50
	v_fma_f16 v93, v30, 0xbbdd, -v72
	v_add_f16_e32 v90, v75, v73
	v_fmamk_f16 v91, v55, 0xbacd, v74
	v_mul_f16_e32 v75, 0x3bf7, v36
	v_mul_f16_e32 v73, 0x3964, v89
	v_add_f16_e32 v50, v87, v81
	v_add_f16_e32 v81, v93, v92
	v_mul_f16_e32 v93, 0xba62, v82
	v_add_f16_e32 v90, v91, v90
	v_fmamk_f16 v91, v52, 0x2de8, v75
	v_mul_f16_e32 v76, 0xb964, v41
	v_fma_f16 v87, v27, 0x39e9, -v73
	v_fma_f16 v92, v34, 0xb8d2, -v93
	v_mul_f16_e32 v95, 0x3bb2, v83
	v_add_f16_e32 v90, v91, v90
	v_fmamk_f16 v91, v53, 0x39e9, v76
	v_mul_f16_e32 v94, 0xb1e1, v35
	v_add_f16_e32 v81, v87, v81
	v_add_f16_e32 v87, v6, v92
	v_fma_f16 v92, v33, 0xb461, -v95
	v_mul_f16_e32 v97, 0xb5c8, v84
	v_lshrrev_b32_e32 v96, 16, v28
	v_pk_add_f16 v7, v6, v7
	v_add_f16_e32 v90, v91, v90
	v_fmamk_f16 v91, v58, 0xbbdd, v94
	v_add_f16_e32 v87, v92, v87
	v_fma_f16 v92, v32, 0x3b76, -v97
	v_mul_f16_e32 v99, 0xb836, v85
	v_mul_f16_e32 v98, 0xbbb2, v96
	v_pk_add_f16 v7, v7, v18
	v_add_f16_e32 v18, v91, v90
	v_add_f16_e32 v87, v92, v87
	v_fma_f16 v90, v31, 0xbacd, -v99
	v_mul_f16_e32 v101, 0x3bf7, v86
	v_fma_f16 v91, v26, 0xb461, -v98
	v_pk_add_f16 v19, v7, v19
	v_mul_f16_e32 v103, 0xbbb2, v39
	v_add_f16_e32 v87, v90, v87
	v_fma_f16 v90, v29, 0x2de8, -v101
	v_add_f16_e32 v7, v91, v81
	v_pk_add_f16 v16, v19, v16
	v_mul_f16_e32 v105, 0x3836, v40
	v_mul_f16_e32 v106, 0x3964, v37
	v_add_f16_e32 v81, v90, v87
	v_fmamk_f16 v90, v57, 0xb461, v103
	v_pk_add_f16 v19, v16, v17
	v_fmamk_f16 v17, v56, 0xbacd, v105
	v_mul_f16_e32 v108, 0xbbb2, v82
	v_mul_f16_e32 v102, 0xb964, v88
	v_add_f16_e32 v16, v51, v90
	v_mul_f16_e32 v109, 0xbb29, v38
	v_mul_f16_e32 v110, 0x3836, v83
	v_fma_f16 v90, v34, 0xb461, -v108
	v_fma_f16 v87, v30, 0x39e9, -v102
	v_add_f16_e32 v16, v17, v16
	v_fmamk_f16 v17, v54, 0x39e9, v106
	v_mul_f16_e32 v104, 0xb1e1, v89
	v_mul_f16_e32 v111, 0xb1e1, v36
	v_add_f16_e32 v90, v6, v90
	v_fma_f16 v91, v33, 0xbacd, -v110
	v_add_f16_e32 v16, v17, v16
	v_fmamk_f16 v17, v55, 0x3722, v109
	v_mul_f16_e32 v112, 0x3964, v84
	v_mul_f16_e32 v100, 0x3b29, v28
	v_add_f16_e32 v81, v87, v81
	v_fma_f16 v87, v27, 0xbbdd, -v104
	v_mul_f16_e32 v107, 0x3b29, v96
	v_add_f16_e32 v16, v17, v16
	v_fmamk_f16 v17, v52, 0xbbdd, v111
	v_mul_f16_e32 v113, 0x3bf7, v41
	v_add_f16_e32 v90, v91, v90
	v_fma_f16 v91, v32, 0x39e9, -v112
	v_mul_f16_e32 v114, 0xbb29, v85
	v_fmamk_f16 v92, v59, 0x3722, v100
	v_add_f16_e32 v81, v87, v81
	v_fma_f16 v87, v26, 0x3722, -v107
	v_add_f16_e32 v16, v17, v16
	v_fmamk_f16 v17, v53, 0x2de8, v113
	v_mul_f16_e32 v115, 0xb5c8, v35
	v_add_f16_e32 v90, v91, v90
	v_fma_f16 v91, v31, 0x3722, -v114
	v_mul_f16_e32 v116, 0xb1e1, v86
	v_add_f16_e32 v18, v92, v18
	v_add_f16_e32 v17, v17, v16
	v_fmamk_f16 v92, v58, 0x3b76, v115
	v_add_f16_e32 v16, v87, v81
	v_add_f16_e32 v81, v91, v90
	v_fma_f16 v87, v29, 0xbbdd, -v116
	v_mul_f16_e32 v117, 0x3bf7, v88
	v_mul_f16_e32 v118, 0xba62, v28
	;; [unrolled: 1-line block ×3, first 2 shown]
	v_add_f16_e32 v17, v92, v17
	v_add_f16_e32 v81, v87, v81
	v_fma_f16 v87, v30, 0x2de8, -v117
	v_mul_f16_e32 v120, 0xb5c8, v89
	v_fmamk_f16 v90, v59, 0xb8d2, v118
	v_fmamk_f16 v91, v57, 0x2de8, v119
	v_mul_f16_e32 v121, 0xb1e1, v40
	v_add_f16_e32 v81, v87, v81
	v_fma_f16 v87, v27, 0x3b76, -v120
	v_add_f16_e32 v17, v90, v17
	v_add_f16_e32 v90, v51, v91
	v_fmamk_f16 v91, v56, 0xbbdd, v121
	v_mul_f16_e32 v122, 0x3bb2, v37
	v_add_f16_e32 v81, v87, v81
	v_mul_f16_e32 v124, 0xbbf7, v82
	v_mul_f16_e32 v125, 0x35c8, v38
	v_add_f16_e32 v87, v91, v90
	v_fmamk_f16 v90, v54, 0xb461, v122
	v_mul_f16_e32 v126, 0xb1e1, v83
	v_fma_f16 v92, v34, 0x2de8, -v124
	v_mul_f16_e32 v127, 0xbb29, v36
	v_mul_f16_e64 v129, 0x3bb2, v84
	v_add_f16_e32 v87, v90, v87
	v_fmamk_f16 v90, v55, 0x3b76, v125
	v_add_f16_e32 v92, v6, v92
	v_fma_f16 v128, v33, 0xbbdd, -v126
	v_mul_f16_e64 v130, 0xb836, v41
	v_mul_f16_e32 v123, 0xba62, v96
	v_add_f16_e32 v87, v90, v87
	v_fmamk_f16 v90, v52, 0x3722, v127
	v_add_f16_e64 v92, v128, v92
	v_fma_f16 v128, v32, 0xb461, -v129
	v_mul_f16_e64 v131, 0x35c8, v85
	v_mul_f16_e64 v132, 0x3a62, v35
	v_add_f16_e32 v87, v90, v87
	v_fma_f16 v90, 0xbacd, v53, v130
	v_mul_f16_e64 v134, 0xbb29, v39
	v_fma_f16 v91, v26, 0xb8d2, -v123
	v_add_f16_e64 v92, v128, v92
	v_fma_f16 v128, v31, 0x3b76, -v131
	v_mul_f16_e64 v133, 0xbb29, v86
	v_add_f16_e32 v87, v90, v87
	v_fma_f16 v90, 0xb8d2, v58, v132
	v_fma_f16 v136, 0x3722, v57, v134
	v_mul_f16_e64 v137, 0xba62, v40
	v_mul_f16_e64 v135, 0x3964, v28
	v_add_f16_e64 v92, v128, v92
	v_fma_f16 v128, v29, 0x3722, -v133
	v_mul_f16_e64 v138, 0xb836, v88
	v_add_f16_e32 v81, v91, v81
	v_add_f16_e32 v87, v90, v87
	v_add_f16_e64 v90, v51, v136
	v_fma_f16 v91, 0xb8d2, v56, v137
	v_mul_f16_e64 v136, 0x31e1, v37
	v_fma_f16 v139, 0x39e9, v59, v135
	v_add_f16_e64 v92, v128, v92
	v_fma_f16 v128, v30, 0xbacd, -v138
	v_add_f16_e32 v90, v91, v90
	v_fma_f16 v91, 0xbbdd, v54, v136
	v_mul_f16_e64 v140, 0x3bb2, v38
	v_mul_f16_e64 v141, 0x3a62, v89
	v_add_f16_e64 v87, v139, v87
	v_add_f16_e64 v92, v128, v92
	v_add_f16_e32 v90, v91, v90
	v_fma_f16 v91, 0xb461, v55, v140
	v_mul_f16_e64 v128, 0x3964, v36
	v_fma_f16 v139, v27, 0xb8d2, -v141
	v_mul_f16_e64 v143, 0xbb29, v82
	v_mul_f16_e64 v144, 0xb5c8, v41
	v_add_f16_e32 v90, v91, v90
	v_fma_f16 v91, 0x39e9, v52, v128
	v_add_f16_e64 v92, v139, v92
	v_fma_f16 v139, v34, 0x3722, -v143
	v_mul_f16_e64 v145, 0xba62, v83
	v_mul_f16_e64 v142, 0x3964, v96
	v_add_f16_e32 v90, v91, v90
	v_fma_f16 v91, 0x3b76, v53, v144
	v_mul_f16_e64 v146, 0xbbf7, v35
	v_add_f16_e64 v139, v6, v139
	v_fma_f16 v147, v33, 0xb8d2, -v145
	v_mul_f16_e64 v148, 0x31e1, v84
	v_fma_f16 v149, v26, 0x39e9, -v142
	v_add_f16_e32 v91, v91, v90
	v_fma_f16 v150, 0x2de8, v58, v146
	v_add_f16_e64 v139, v147, v139
	v_fma_f16 v147, v32, 0xbbdd, -v148
	v_mul_f16_e64 v151, 0x3bb2, v85
	v_add_f16_e64 v90, v149, v92
	v_add_f16_e64 v92, v150, v91
	v_mul_f16_e64 v149, 0xb964, v39
	v_add_f16_e64 v139, v147, v139
	v_fma_f16 v147, v31, 0xb461, -v151
	v_mul_f16_e64 v150, 0x3964, v86
	v_mul_f16_e64 v153, 0xbbf7, v40
	v_fma_f16 v152, 0x39e9, v57, v149
	v_mul_f16_e64 v154, 0xb5c8, v88
	v_add_f16_e64 v139, v147, v139
	v_fma_f16 v147, v29, 0x39e9, -v150
	v_fma_f16 v155, 0x2de8, v56, v153
	v_add_f16_e64 v152, v51, v152
	v_mul_f16_e64 v156, 0xba62, v37
	v_mul_f16_e64 v157, 0xbbf7, v89
	v_add_f16_e64 v139, v147, v139
	v_fma_f16 v147, v30, 0x3b76, -v154
	v_add_f16_e64 v152, v155, v152
	v_fma_f16 v155, 0xb8d2, v54, v156
	v_mul_f16_e64 v158, 0xb1e1, v38
	v_mul_f16_e32 v91, 0xbacd, v59
	v_add_f16_e64 v139, v147, v139
	v_fma_f16 v147, v27, 0x2de8, -v157
	v_add_f16_e64 v152, v155, v152
	v_fma_f16 v155, 0xbbdd, v55, v158
	v_mul_f16_e64 v160, 0x3836, v36
	v_fma_f16 v159, 0xb836, v28, v91
	v_add_f16_e64 v139, v147, v139
	v_mul_f16_e64 v147, 0xb5c8, v82
	v_add_f16_e64 v82, v155, v152
	v_fma_f16 v152, 0xbacd, v52, v160
	v_mul_f16_e64 v155, 0x3bb2, v41
	v_mul_f16_e32 v83, 0xb964, v83
	v_fma_f16 v161, v34, 0x3b76, -v147
	v_add_f16_e64 v92, v159, v92
	v_mul_f16_e64 v159, 0xb836, v96
	v_add_f16_e64 v82, v152, v82
	v_fma_f16 v152, 0xb461, v53, v155
	v_mul_f16_e64 v162, 0x3b29, v35
	v_add_f16_e64 v161, v6, v161
	v_fma_f16 v163, v33, 0x39e9, -v83
	v_mul_f16_e32 v84, 0xbb29, v84
	v_fma_f16 v164, v26, 0xbacd, -v159
	v_add_f16_e64 v152, v152, v82
	v_fma_f16 v165, 0x3722, v58, v162
	v_add_f16_e64 v161, v163, v161
	v_fma_f16 v163, v32, 0x3722, -v84
	v_mul_f16_e32 v85, 0xbbf7, v85
	v_add_f16_e64 v82, v164, v139
	v_add_f16_e64 v139, v165, v152
	v_fma_f16 v66, v57, 0xbacd, -v66
	v_add_f16_e64 v152, v163, v161
	v_fma_f16 v161, v31, 0x2de8, -v85
	v_mul_f16_e32 v86, 0xbbb2, v86
	v_fma_f16 v64, v56, 0x3722, -v64
	v_add_f16_e32 v66, v51, v66
	v_mul_f16_e32 v88, 0xba62, v88
	v_add_f16_e64 v152, v161, v152
	v_fma_f16 v161, v29, 0xb461, -v86
	v_fma_f16 v65, v54, 0x2de8, -v65
	v_add_f16_e32 v64, v64, v66
	v_mul_f16_e32 v89, 0xb836, v89
	v_fmac_f16_e32 v69, 0xbacd, v34
	v_add_f16_e64 v66, v161, v152
	v_fma_f16 v152, v30, 0xb8d2, -v88
	v_add_f16_e32 v64, v65, v64
	v_fma_f16 v65, v55, 0xb8d2, -v67
	v_fma_f16 v67, v27, 0xbacd, -v89
	v_mul_f16_e32 v96, 0xb1e1, v96
	v_add_f16_e64 v66, v152, v66
	v_fma_f16 v61, v52, 0x3b76, -v61
	v_add_f16_e32 v64, v65, v64
	v_add_f16_e32 v65, v6, v69
	v_fmac_f16_e32 v70, 0x3722, v33
	v_add_f16_e32 v66, v67, v66
	v_fma_f16 v67, v26, 0xbbdd, -v96
	v_add_f16_e32 v61, v61, v64
	v_fma_f16 v62, v53, 0xbbdd, -v62
	v_add_f16_e32 v64, v70, v65
	v_fmac_f16_e32 v68, 0x2de8, v32
	v_add_f16_e32 v65, v67, v66
	v_fma_f16 v66, v57, 0xb8d2, -v78
	v_add_f16_e32 v61, v62, v61
	v_fma_f16 v60, v58, 0x39e9, -v60
	;; [unrolled: 6-line block ×3, first 2 shown]
	v_add_f16_e32 v62, v77, v62
	v_fmac_f16_e32 v71, 0x3b76, v29
	v_add_f16_e32 v63, v66, v64
	v_fma_f16 v64, v54, 0x3b76, -v80
	v_fmac_f16_e32 v93, 0xb8d2, v34
	v_add_f16_e32 v60, v61, v60
	v_add_f16_e32 v61, v71, v62
	v_fmac_f16_e32 v95, 0xb461, v33
	v_add_f16_e32 v62, v64, v63
	v_fma_f16 v63, v55, 0xbacd, -v74
	v_add_f16_e32 v64, v6, v93
	v_fmac_f16_e32 v97, 0x3b76, v32
	v_fmac_f16_e32 v99, 0xbacd, v31
	v_fma_f16 v66, v57, 0xb461, -v103
	v_add_f16_e32 v62, v63, v62
	v_fma_f16 v63, v52, 0x2de8, -v75
	v_add_f16_e32 v64, v95, v64
	v_fmac_f16_e32 v101, 0x2de8, v29
	v_add_f16_e32 v66, v51, v66
	v_fma_f16 v67, v56, 0xbacd, -v105
	v_add_f16_e32 v62, v63, v62
	v_fma_f16 v63, v53, 0x39e9, -v76
	v_add_f16_e32 v64, v97, v64
	v_fmac_f16_e32 v102, 0x39e9, v30
	v_add_f16_e32 v66, v67, v66
	v_fma_f16 v67, v54, 0x39e9, -v106
	v_add_f16_e32 v62, v63, v62
	v_fma_f16 v63, v58, 0xbbdd, -v94
	v_add_f16_e32 v64, v99, v64
	v_fmac_f16_e32 v108, 0xb461, v34
	v_fmac_f16_e32 v110, 0xbacd, v33
	v_fmac_f16_e32 v112, 0x39e9, v32
	v_add_f16_e32 v62, v63, v62
	v_fma_f16 v63, v59, 0x3722, -v100
	v_add_f16_e32 v64, v101, v64
	v_fma_f16 v68, v57, 0x2de8, -v119
	v_fmac_f16_e32 v114, 0x3722, v31
	v_fma_f16 v69, v56, 0xbbdd, -v121
	v_add_f16_e32 v62, v63, v62
	v_add_f16_e32 v63, v102, v64
	;; [unrolled: 1-line block ×3, first 2 shown]
	v_fma_f16 v66, v55, 0x3722, -v109
	v_add_f16_e32 v67, v6, v108
	v_add_f16_e32 v68, v51, v68
	v_fmac_f16_e32 v116, 0xbbdd, v29
	v_fmac_f16_e32 v117, 0x2de8, v30
	v_add_f16_e32 v64, v66, v64
	v_fma_f16 v66, v52, 0xbbdd, -v111
	v_add_f16_e32 v67, v110, v67
	v_add_f16_e32 v68, v69, v68
	v_fma_f16 v69, v54, 0xb461, -v122
	v_fmac_f16_e32 v124, 0x2de8, v34
	v_add_f16_e32 v64, v66, v64
	v_fma_f16 v66, v53, 0x2de8, -v113
	v_add_f16_e32 v67, v112, v67
	v_add_f16_e32 v68, v69, v68
	v_fma_f16 v69, v55, 0x3b76, -v125
	v_fmac_f16_e32 v126, 0xbbdd, v33
	v_add_f16_e32 v64, v66, v64
	v_fma_f16 v66, v58, 0x3b76, -v115
	v_add_f16_e32 v67, v114, v67
	v_fmac_f16_e64 v129, 0xb461, v32
	v_fma_f16 v70, v57, 0x3722, -v134
	v_fmac_f16_e64 v131, 0x3b76, v31
	v_add_f16_e32 v64, v66, v64
	v_fma_f16 v66, v59, 0xb8d2, -v118
	v_add_f16_e32 v67, v116, v67
	v_add_f16_e32 v70, v51, v70
	v_fma_f16 v71, v56, 0xb8d2, -v137
	v_fmac_f16_e64 v133, 0x3722, v29
	v_add_f16_e32 v64, v66, v64
	v_add_f16_e32 v66, v117, v67
	;; [unrolled: 1-line block ×3, first 2 shown]
	v_fma_f16 v68, v52, 0x3722, -v127
	v_add_f16_e32 v69, v6, v124
	v_add_f16_e32 v70, v71, v70
	v_fma_f16 v71, v54, 0xbbdd, -v136
	v_fmac_f16_e64 v143, 0x3722, v34
	v_add_f16_e32 v67, v68, v67
	v_fma_f16 v68, v53, 0xbacd, -v130
	v_add_f16_e32 v69, v126, v69
	v_fma_f16 v57, v57, 0x39e9, -v149
	v_fmac_f16_e64 v138, 0xbacd, v30
	v_fmac_f16_e64 v145, 0xb8d2, v33
	v_add_f16_e32 v67, v68, v67
	v_fma_f16 v68, v58, 0xb8d2, -v132
	v_add_f16_e64 v69, v129, v69
	v_add_f16_e32 v51, v51, v57
	v_fma_f16 v56, v56, 0x2de8, -v153
	v_fmac_f16_e64 v141, 0xb8d2, v27
	v_add_f16_e32 v67, v68, v67
	v_fma_f16 v68, v59, 0x39e9, -v135
	v_add_f16_e64 v69, v131, v69
	v_fmac_f16_e64 v148, 0xbbdd, v32
	v_add_f16_e32 v51, v56, v51
	v_fma_f16 v54, v54, 0xb8d2, -v156
	v_add_f16_e32 v67, v68, v67
	v_add_f16_e64 v68, v133, v69
	v_add_f16_e32 v69, v71, v70
	v_fma_f16 v70, v55, 0xb461, -v140
	v_add_f16_e64 v71, v6, v143
	v_fmac_f16_e64 v142, 0x39e9, v26
	v_add_f16_e64 v68, v138, v68
	v_fmac_f16_e64 v151, 0xb461, v31
	v_add_f16_e32 v69, v70, v69
	v_fma_f16 v70, v52, 0x39e9, -v128
	v_add_f16_e64 v71, v145, v71
	v_add_f16_e64 v68, v141, v68
	v_add_f16_e32 v51, v54, v51
	v_fma_f16 v55, v55, 0xbbdd, -v158
	v_add_f16_e32 v69, v70, v69
	v_add_f16_e64 v70, v148, v71
	v_fmac_f16_e32 v72, 0xbbdd, v30
	v_fma_f16 v71, v53, 0x3b76, -v144
	v_add_f16_e64 v57, v142, v68
	v_add_f16_e32 v51, v55, v51
	v_add_f16_e64 v68, v151, v70
	v_pk_mul_f16 v70, 0x3b7639e9, v34
	v_fma_f16 v52, v52, 0xbacd, -v160
	v_add_f16_e32 v61, v72, v61
	v_fmac_f16_e32 v73, 0x39e9, v27
	v_add_f16_e32 v69, v71, v69
	v_alignbit_b32 v56, v6, v6, 16
	v_pk_mul_f16 v54, 0x39e92de8, v33
	v_pk_fma_f16 v71, 0xb964b5c8, v39, v70 op_sel:[0,0,1] op_sel_hi:[1,1,0]
	v_add_f16_e32 v51, v52, v51
	v_fma_f16 v52, v53, 0xb461, -v155
	v_pk_mul_f16 v75, 0x2de8bbdd, v31
	v_pk_fma_f16 v39, 0xb964b5c8, v39, v70 op_sel:[0,0,1] op_sel_hi:[1,1,0] neg_lo:[0,1,0] neg_hi:[0,1,0]
	v_add_f16_e32 v61, v73, v61
	v_pk_mul_f16 v72, 0x3722b8d2, v32
	v_pk_add_f16 v55, v56, v71
	v_pk_fma_f16 v73, 0xbbf7b964, v40, v54 op_sel:[0,0,1] op_sel_hi:[1,1,0]
	v_fma_f16 v76, v58, 0x2de8, -v146
	v_add_f16_e32 v51, v52, v51
	v_fma_f16 v52, v58, 0x3722, -v162
	v_pk_fma_f16 v58, 0xb1e1bbf7, v38, v75 op_sel:[0,0,1] op_sel_hi:[1,1,0]
	v_pk_mul_f16 v79, 0xbacd3722, v27
	v_pk_fma_f16 v40, 0xbbf7b964, v40, v54 op_sel:[0,0,1] op_sel_hi:[1,1,0] neg_lo:[0,1,0] neg_hi:[0,1,0]
	v_pk_fma_f16 v38, 0xb1e1bbf7, v38, v75 op_sel:[0,0,1] op_sel_hi:[1,1,0] neg_lo:[0,1,0] neg_hi:[0,1,0]
	v_add_f16_e32 v75, v56, v39
	v_pk_add_f16 v14, v19, v14
	v_pk_add_f16 v53, v73, v55
	v_pk_fma_f16 v55, 0xba62bb29, v37, v72 op_sel:[0,0,1] op_sel_hi:[1,1,0]
	v_pk_fma_f16 v37, 0xba62bb29, v37, v72 op_sel:[0,0,1] op_sel_hi:[1,1,0] neg_lo:[0,1,0] neg_hi:[0,1,0]
	v_pk_fma_f16 v72, 0x3b29b836, v35, v79 op_sel:[0,0,1] op_sel_hi:[1,1,0]
	v_pk_fma_f16 v19, 0x3b29b836, v35, v79 op_sel:[0,0,1] op_sel_hi:[1,1,0] neg_lo:[0,1,0] neg_hi:[0,1,0]
	v_add_f16_e32 v35, v40, v75
	v_fmac_f16_e64 v147, 0x3b76, v34
	v_pk_add_f16 v14, v14, v15
	v_bfi_b32 v15, 0xffff, v71, v39
	v_mul_f16_e64 v163, 0x35c8, v28
	v_pk_add_f16 v53, v55, v53
	v_pk_mul_f16 v77, 0xb461bacd, v29
	v_add_f16_e32 v35, v37, v35
	v_add_f16_e64 v39, v6, v147
	v_fmac_f16_e32 v83, 0x39e9, v33
	v_pk_add_f16 v12, v14, v12
	v_pk_add_f16 v14, v56, v15
	v_bfi_b32 v15, 0xffff, v73, v40
	v_fma_f16 v164, 0x3b76, v59, v163
	v_add_f16_e32 v51, v52, v51
	v_fma_f16 v52, v59, 0x3b76, -v163
	v_pk_add_f16 v53, v58, v53
	v_pk_fma_f16 v59, 0x3836bbb2, v36, v77 op_sel:[0,0,1] op_sel_hi:[1,1,0]
	v_pk_mul_f16 v78, 0xb8d2b461, v30
	v_pk_fma_f16 v36, 0x3836bbb2, v36, v77 op_sel:[0,0,1] op_sel_hi:[1,1,0] neg_lo:[0,1,0] neg_hi:[0,1,0]
	v_add_f16_e32 v33, v38, v35
	v_add_f16_e32 v35, v83, v39
	v_fmac_f16_e32 v84, 0x3722, v32
	v_pk_add_f16 v12, v12, v13
	v_pk_add_f16 v13, v15, v14
	v_bfi_b32 v14, 0xffff, v55, v37
	v_add_f16_e32 v51, v52, v51
	v_pk_add_f16 v52, v59, v53
	v_pk_fma_f16 v53, 0x3bb2ba62, v41, v78 op_sel:[0,0,1] op_sel_hi:[1,1,0]
	v_pk_fma_f16 v41, 0x3bb2ba62, v41, v78 op_sel:[0,0,1] op_sel_hi:[1,1,0] neg_lo:[0,1,0] neg_hi:[0,1,0]
	v_add_f16_e32 v15, v36, v33
	v_add_f16_e32 v32, v84, v35
	v_fmac_f16_e32 v85, 0x2de8, v31
	v_pk_add_f16 v10, v12, v10
	v_pk_add_f16 v12, v14, v13
	v_bfi_b32 v13, 0xffff, v58, v38
	v_pk_add_f16 v6, v6, v42
	v_add_f16_e32 v14, v41, v15
	v_add_f16_e32 v15, v85, v32
	v_fmac_f16_e32 v86, 0xb461, v29
	v_pk_add_f16 v10, v10, v11
	v_pk_add_f16 v11, v13, v12
	v_bfi_b32 v12, 0xffff, v59, v36
	v_pk_add_f16 v6, v43, v6
	v_pk_mul_f16 v70, 0xbbdd3b76, v26
	v_add_f16_e32 v13, v19, v14
	v_add_f16_e32 v14, v86, v15
	v_fmac_f16_e32 v88, 0xb8d2, v30
	v_pk_add_f16 v8, v10, v8
	v_pk_add_f16 v10, v12, v11
	v_bfi_b32 v11, 0xffff, v53, v41
	v_pk_add_f16 v6, v44, v6
	v_pk_fma_f16 v34, 0x35c8b1e1, v28, v70 op_sel:[0,0,1] op_sel_hi:[1,1,0] neg_lo:[0,1,0] neg_hi:[0,1,0]
	v_add_f16_e32 v12, v88, v14
	v_fmac_f16_e32 v89, 0xbacd, v27
	v_pk_add_f16 v8, v8, v9
	v_pk_add_f16 v9, v11, v10
	v_bfi_b32 v10, 0xffff, v72, v19
	v_pk_fma_f16 v11, 0x35c8b1e1, v28, v70 op_sel:[0,0,1] op_sel_hi:[1,1,0]
	v_pk_add_f16 v6, v45, v6
	v_fmac_f16_e64 v150, 0x39e9, v29
	v_mul_f16_e32 v74, 0xb836, v28
	v_pk_add_f16 v52, v53, v52
	v_add_f16_e32 v12, v89, v12
	v_pk_add_f16 v4, v8, v4
	v_pk_add_f16 v8, v10, v9
	v_bfi_b32 v9, 0xffff, v11, v34
	v_fmac_f16_e32 v96, 0xbbdd, v26
	v_pk_add_f16 v6, v46, v6
	v_add_f16_e64 v68, v150, v68
	v_fmac_f16_e64 v154, 0x3b76, v30
	v_pk_mul_f16 v54, 0x35c8b1e1, v28
	v_pk_add_f16 v4, v4, v5
	v_pk_add_f16 v5, v9, v8
	v_add_f16_e32 v8, v96, v12
	v_bfi_b32 v12, 0xffff, v74, v52
	v_pk_add_f16 v6, v49, v6
	v_fmac_f16_e32 v104, 0xbbdd, v27
	v_fmac_f16_e32 v120, 0x3b76, v27
	v_add_f16_e64 v139, v164, v139
	v_add_f16_e64 v68, v154, v68
	v_fmac_f16_e64 v157, 0x2de8, v27
	v_pack_b32_f16 v15, v16, v18
	v_pk_add_f16 v12, v91, v12 neg_lo:[0,1] neg_hi:[0,1]
	v_pk_add_f16 v16, v72, v52
	v_pack_b32_f16 v18, v76, v70
	v_bfi_b32 v19, 0xffff, v69, v54
	v_fmac_f16_e32 v98, 0xb461, v26
	v_pk_add_f16 v6, v47, v6
	v_add_f16_e32 v63, v104, v63
	v_fmac_f16_e32 v107, 0x3722, v26
	v_add_f16_e32 v66, v120, v66
	v_fmac_f16_e32 v123, 0xb8d2, v26
	v_add_f16_e64 v68, v157, v68
	v_fmac_f16_e64 v159, 0xbacd, v26
	v_lshl_add_u32 v9, v0, 6, v20
	v_alignbit_b32 v11, v139, v5, 16
	v_pack_b32_f16 v5, v65, v5
	v_bfi_b32 v12, 0xffff, v12, v16
	v_pk_add_f16 v16, v18, v19
	v_add_f16_e32 v10, v34, v13
	v_pack_b32_f16 v13, v90, v87
	v_pack_b32_f16 v14, v82, v92
	;; [unrolled: 1-line block ×3, first 2 shown]
	v_add_f16_e32 v61, v98, v61
	v_pk_add_f16 v6, v48, v6
	v_pack_b32_f16 v7, v7, v50
	v_add_f16_e32 v63, v107, v63
	v_add_f16_e32 v66, v123, v66
	v_add_f16_e64 v68, v159, v68
	ds_store_2addr_b32 v9, v5, v11 offset0:1 offset1:2
	ds_store_2addr_b32 v9, v14, v13 offset0:3 offset1:4
	;; [unrolled: 1-line block ×4, first 2 shown]
	v_pk_add_f16 v6, v12, v16
	v_pk_add_f16 v4, v4, v25
	v_pack_b32_f16 v12, v57, v67
	v_pack_b32_f16 v5, v61, v60
	v_perm_b32 v7, v22, v21, 0x5040100
	v_pack_b32_f16 v11, v66, v64
	v_pack_b32_f16 v13, v63, v62
	v_alignbit_b32 v14, v51, v6, 16
	v_pack_b32_f16 v6, v68, v6
	v_pack_b32_f16 v8, v8, v10
	ds_store_2addr_b32 v9, v4, v12 offset1:13
	ds_store_2addr_b32 v9, v7, v5 offset0:9 offset1:10
	ds_store_2addr_b32 v9, v13, v11 offset0:11 offset1:12
	;; [unrolled: 1-line block ×3, first 2 shown]
	ds_store_b32 v9, v8 offset:64
.LBB0_13:
	s_wait_alu 0xfffe
	s_or_b32 exec_lo, exec_lo, s1
	v_and_b32_e32 v4, 0xff, v0
	global_wb scope:SCOPE_SE
	s_wait_dscnt 0x0
	s_barrier_signal -1
	s_barrier_wait -1
	global_inv scope:SCOPE_SE
	v_mul_lo_u16 v4, 0xf1, v4
	v_cmp_gt_u32_e64 s0, 51, v0
	s_delay_alu instid0(VALU_DEP_2) | instskip(NEXT) | instid1(VALU_DEP_1)
	v_lshrrev_b16 v25, 12, v4
	v_mul_lo_u16 v4, v25, 17
	v_and_b32_e32 v25, 0xffff, v25
	s_delay_alu instid0(VALU_DEP_2) | instskip(NEXT) | instid1(VALU_DEP_2)
	v_sub_nc_u16 v4, v0, v4
	v_mul_u32_u24_e32 v25, 0x264, v25
	s_delay_alu instid0(VALU_DEP_2) | instskip(NEXT) | instid1(VALU_DEP_1)
	v_and_b32_e32 v26, 0xff, v4
	v_lshlrev_b32_e32 v8, 5, v26
	v_lshlrev_b32_e32 v26, 2, v26
	s_clause 0x1
	global_load_b128 v[4:7], v8, s[4:5]
	global_load_b128 v[8:11], v8, s[4:5] offset:16
	ds_load_2addr_b32 v[12:13], v1 offset0:100 offset1:202
	ds_load_b32 v27, v20 offset:3264
	ds_load_2addr_b32 v[14:15], v20 offset1:102
	ds_load_2addr_b32 v[16:17], v23 offset0:76 offset1:178
	ds_load_2addr_b32 v[18:19], v24 offset0:152 offset1:254
	v_add3_u32 v25, 0, v25, v26
	v_add_nc_u32_e32 v24, 0x600, v20
	global_wb scope:SCOPE_SE
	s_wait_loadcnt_dscnt 0x0
	s_barrier_signal -1
	s_barrier_wait -1
	global_inv scope:SCOPE_SE
	v_lshrrev_b32_e32 v28, 16, v12
	v_lshrrev_b32_e32 v29, 16, v13
	v_lshrrev_b32_e32 v30, 16, v27
	v_lshrrev_b32_e32 v31, 16, v15
	v_lshrrev_b32_e32 v32, 16, v16
	v_lshrrev_b32_e32 v33, 16, v17
	v_lshrrev_b32_e32 v34, 16, v18
	v_lshrrev_b32_e32 v35, 16, v19
	v_lshrrev_b32_e32 v36, 16, v14
	v_lshrrev_b32_e32 v26, 16, v4
	v_lshrrev_b32_e32 v37, 16, v5
	v_lshrrev_b32_e32 v38, 16, v6
	v_lshrrev_b32_e32 v39, 16, v7
	v_lshrrev_b32_e32 v40, 16, v8
	v_lshrrev_b32_e32 v41, 16, v9
	v_lshrrev_b32_e32 v42, 16, v10
	v_lshrrev_b32_e32 v43, 16, v11
	v_mul_f16_e32 v44, v26, v31
	v_mul_f16_e32 v26, v26, v15
	;; [unrolled: 1-line block ×16, first 2 shown]
	v_fma_f16 v15, v4, v15, -v44
	v_fmac_f16_e32 v26, v4, v31
	v_fma_f16 v4, v5, v16, -v45
	v_fmac_f16_e32 v37, v5, v32
	;; [unrolled: 2-line block ×5, first 2 shown]
	v_fma_f16 v8, v12, v9, -v49
	v_fma_f16 v12, v27, v11, -v51
	v_fmac_f16_e32 v43, v30, v11
	v_fma_f16 v11, v13, v10, -v50
	v_fmac_f16_e32 v42, v29, v10
	v_fmac_f16_e32 v41, v28, v9
	v_add_f16_e32 v9, v15, v12
	v_add_f16_e32 v10, v26, v43
	v_add_f16_e32 v13, v4, v11
	v_add_f16_e32 v16, v37, v42
	v_sub_f16_e32 v12, v15, v12
	v_sub_f16_e32 v19, v6, v7
	v_add_f16_e32 v17, v5, v8
	v_add_f16_e32 v18, v38, v41
	v_sub_f16_e32 v4, v4, v11
	v_add_f16_e32 v27, v6, v7
	v_add_f16_e32 v28, v39, v40
	v_mul_f16_e32 v29, 0x3924, v12
	v_mul_f16_e32 v33, 0xb924, v19
	v_add_f16_e32 v44, v13, v9
	v_add_f16_e32 v45, v16, v10
	v_mul_f16_e32 v46, 0x3be1, v19
	v_sub_f16_e32 v5, v5, v8
	v_fmac_f16_e32 v29, 0x3be1, v4
	v_fmac_f16_e32 v33, 0x3be1, v12
	v_add_f16_e32 v48, v27, v44
	v_add_f16_e32 v49, v28, v45
	v_fma_f16 v46, v4, 0xb924, -v46
	v_add_f16_e32 v44, v17, v44
	v_add_f16_e32 v45, v18, v45
	v_sub_f16_e32 v8, v38, v41
	v_add_f16_e32 v38, v19, v12
	v_fmac_f16_e32 v29, 0x3aee, v5
	v_fmac_f16_e32 v33, 0xbaee, v5
	;; [unrolled: 1-line block ×3, first 2 shown]
	v_add_f16_e32 v5, v6, v44
	v_add_f16_e32 v6, v39, v45
	v_sub_f16_e32 v15, v26, v43
	v_sub_f16_e32 v26, v39, v40
	;; [unrolled: 1-line block ×3, first 2 shown]
	v_fmac_f16_e32 v33, 0x3579, v4
	v_add_f16_e32 v4, v7, v5
	v_add_f16_e32 v5, v40, v6
	v_sub_f16_e32 v11, v37, v42
	v_mul_f16_e32 v34, 0xb924, v26
	v_fmamk_f16 v35, v27, 0x3a21, v14
	v_fmamk_f16 v37, v28, 0x3a21, v36
	v_mul_f16_e32 v30, 0x3924, v15
	v_fmamk_f16 v31, v9, 0x3a21, v14
	v_fmamk_f16 v32, v10, 0x3a21, v36
	v_add_f16_e32 v42, v17, v14
	v_add_f16_e32 v43, v18, v36
	v_mul_f16_e32 v47, 0x3be1, v26
	v_add_f16_e32 v4, v14, v4
	v_add_f16_e32 v5, v36, v5
	v_fmac_f16_e32 v14, 0x3a21, v13
	v_fmac_f16_e32 v36, 0x3a21, v16
	;; [unrolled: 1-line block ×8, first 2 shown]
	v_fma_f16 v47, v11, 0xb924, -v47
	v_fmac_f16_e32 v14, 0x318f, v27
	v_fmac_f16_e32 v36, 0x318f, v28
	v_add_f16_e32 v41, v26, v15
	v_fmac_f16_e32 v34, 0xbaee, v8
	v_fmac_f16_e32 v35, -0.5, v17
	v_fmac_f16_e32 v37, -0.5, v18
	v_fmac_f16_e32 v30, 0x3aee, v8
	v_fmac_f16_e32 v31, -0.5, v17
	v_fmac_f16_e32 v32, -0.5, v18
	;; [unrolled: 3-line block ×3, first 2 shown]
	v_sub_f16_e32 v41, v41, v11
	v_fmac_f16_e32 v42, -0.5, v48
	v_fmac_f16_e32 v43, -0.5, v49
	v_fmac_f16_e32 v34, 0x3579, v11
	v_fmac_f16_e32 v35, 0xbb84, v13
	;; [unrolled: 1-line block ×11, first 2 shown]
	v_mul_f16_e32 v50, 0x3aee, v38
	v_mul_f16_e32 v51, 0x3aee, v41
	v_fmac_f16_e32 v42, 0x3aee, v41
	v_fmac_f16_e32 v43, 0xbaee, v38
	v_add_f16_e32 v8, v34, v35
	v_sub_f16_e32 v11, v37, v33
	v_add_f16_e32 v6, v30, v31
	v_sub_f16_e32 v7, v32, v29
	;; [unrolled: 2-line block ×3, first 2 shown]
	v_fma_f16 v12, -2.0, v51, v42
	v_fma_f16 v13, 2.0, v50, v43
	v_fma_f16 v9, -2.0, v34, v8
	v_fma_f16 v10, 2.0, v33, v11
	;; [unrolled: 2-line block ×3, first 2 shown]
	v_pack_b32_f16 v4, v4, v5
	v_pack_b32_f16 v5, v6, v7
	;; [unrolled: 1-line block ×3, first 2 shown]
	v_fma_f16 v7, -2.0, v47, v14
	v_fma_f16 v8, 2.0, v46, v16
	v_pack_b32_f16 v15, v42, v43
	v_pack_b32_f16 v11, v12, v13
	;; [unrolled: 1-line block ×6, first 2 shown]
	ds_store_2addr_b32 v25, v4, v5 offset1:17
	ds_store_2addr_b32 v25, v6, v15 offset0:34 offset1:51
	ds_store_2addr_b32 v25, v11, v9 offset0:102 offset1:119
	ds_store_b32 v25, v10 offset:544
	ds_store_2addr_b32 v25, v12, v7 offset0:68 offset1:85
	global_wb scope:SCOPE_SE
	s_wait_dscnt 0x0
	s_barrier_signal -1
	s_barrier_wait -1
	global_inv scope:SCOPE_SE
	ds_load_2addr_b32 v[8:9], v20 offset1:102
	ds_load_2addr_b32 v[12:13], v24 offset0:75 offset1:177
	ds_load_2addr_b32 v[10:11], v23 offset0:76 offset1:178
	;; [unrolled: 1-line block ×3, first 2 shown]
	s_and_saveexec_b32 s1, s0
	s_cbranch_execz .LBB0_15
; %bb.14:
	ds_load_b32 v17, v20 offset:1632
	ds_load_b32 v21, v20 offset:3468
	s_wait_dscnt 0x1
	v_lshrrev_b32_e32 v18, 16, v17
	s_wait_dscnt 0x0
	v_lshrrev_b32_e32 v22, 16, v21
.LBB0_15:
	s_wait_alu 0xfffe
	s_or_b32 exec_lo, exec_lo, s1
	v_add_nc_u32_e32 v16, 0x132, v0
	v_subrev_nc_u32_e32 v6, 51, v0
	s_delay_alu instid0(VALU_DEP_2) | instskip(NEXT) | instid1(VALU_DEP_1)
	v_and_b32_e32 v1, 0xffff, v16
	v_mul_u32_u24_e32 v4, 0x358b, v1
	v_mov_b32_e32 v1, 0
	v_add_nc_u32_e32 v19, 0x66, v0
	s_delay_alu instid0(VALU_DEP_3) | instskip(NEXT) | instid1(VALU_DEP_3)
	v_lshrrev_b32_e32 v7, 21, v4
	v_mov_b32_e32 v24, v1
	v_lshlrev_b64_e32 v[4:5], 2, v[0:1]
	s_delay_alu instid0(VALU_DEP_4) | instskip(NEXT) | instid1(VALU_DEP_4)
	v_cndmask_b32_e64 v23, v6, v19, s0
	v_mul_lo_u16 v25, 0x99, v7
	s_delay_alu instid0(VALU_DEP_3) | instskip(NEXT) | instid1(VALU_DEP_2)
	v_add_co_u32 v6, s1, s4, v4
	v_sub_nc_u16 v16, v16, v25
	s_delay_alu instid0(VALU_DEP_4) | instskip(SKIP_4) | instid1(VALU_DEP_4)
	v_lshlrev_b64_e32 v[24:25], 2, v[23:24]
	s_wait_alu 0xf1ff
	v_add_co_ci_u32_e64 v7, s1, s5, v5, s1
	v_lshlrev_b32_e32 v23, 2, v23
	v_and_b32_e32 v16, 0xffff, v16
	v_add_co_u32 v24, s1, s4, v24
	global_load_b32 v26, v[6:7], off offset:544
	s_wait_alu 0xf1ff
	v_add_co_ci_u32_e64 v25, s1, s5, v25, s1
	v_lshlrev_b32_e32 v27, 2, v16
	s_clause 0x2
	global_load_b32 v28, v[6:7], off offset:748
	global_load_b32 v24, v[24:25], off offset:544
	global_load_b32 v25, v27, s[4:5] offset:544
	v_cmp_lt_u32_e64 s1, 50, v0
	v_add_nc_u32_e32 v27, 0, v27
	v_add_nc_u32_e32 v16, 0x400, v20
	global_wb scope:SCOPE_SE
	s_wait_loadcnt_dscnt 0x0
	s_barrier_signal -1
	s_wait_alu 0xf1ff
	v_cndmask_b32_e64 v29, 0, 0x4c8, s1
	s_barrier_wait -1
	global_inv scope:SCOPE_SE
	v_add3_u32 v23, 0, v29, v23
	v_pk_mul_f16 v30, v26, v12 op_sel:[0,1]
	v_pk_mul_f16 v29, v28, v14 op_sel:[0,1]
	;; [unrolled: 1-line block ×3, first 2 shown]
	s_delay_alu instid0(VALU_DEP_3)
	v_pk_fma_f16 v31, v26, v12, v30 op_sel:[0,0,1] op_sel_hi:[1,1,0] neg_lo:[0,0,1] neg_hi:[0,0,1]
	v_pk_fma_f16 v12, v26, v12, v30 op_sel:[0,0,1] op_sel_hi:[1,0,0]
	v_pk_mul_f16 v26, v25, v15 op_sel:[0,1]
	v_pk_fma_f16 v30, v28, v14, v29 op_sel:[0,0,1] op_sel_hi:[1,1,0] neg_lo:[0,0,1] neg_hi:[0,0,1]
	v_pk_fma_f16 v14, v28, v14, v29 op_sel:[0,0,1] op_sel_hi:[1,0,0]
	v_pk_fma_f16 v28, v24, v13, v32 op_sel:[0,0,1] op_sel_hi:[1,1,0] neg_lo:[0,0,1] neg_hi:[0,0,1]
	v_pk_fma_f16 v13, v24, v13, v32 op_sel:[0,0,1] op_sel_hi:[1,0,0]
	;; [unrolled: 2-line block ×3, first 2 shown]
	v_bfi_b32 v12, 0xffff, v31, v12
	v_bfi_b32 v14, 0xffff, v30, v14
	;; [unrolled: 1-line block ×3, first 2 shown]
	s_delay_alu instid0(VALU_DEP_4) | instskip(NEXT) | instid1(VALU_DEP_4)
	v_bfi_b32 v15, 0xffff, v24, v15
	v_pk_add_f16 v12, v8, v12 neg_lo:[0,1] neg_hi:[0,1]
	s_delay_alu instid0(VALU_DEP_4) | instskip(NEXT) | instid1(VALU_DEP_4)
	v_pk_add_f16 v14, v10, v14 neg_lo:[0,1] neg_hi:[0,1]
	v_pk_add_f16 v13, v9, v13 neg_lo:[0,1] neg_hi:[0,1]
	v_add_nc_u32_e32 v24, 0x800, v27
	v_pk_add_f16 v15, v11, v15 neg_lo:[0,1] neg_hi:[0,1]
	v_pk_fma_f16 v8, v8, 2.0, v12 op_sel_hi:[1,0,1] neg_lo:[0,0,1] neg_hi:[0,0,1]
	v_pk_fma_f16 v10, v10, 2.0, v14 op_sel_hi:[1,0,1] neg_lo:[0,0,1] neg_hi:[0,0,1]
	v_pk_fma_f16 v9, v9, 2.0, v13 op_sel_hi:[1,0,1] neg_lo:[0,0,1] neg_hi:[0,0,1]
	s_delay_alu instid0(VALU_DEP_4)
	v_pk_fma_f16 v11, v11, 2.0, v15 op_sel_hi:[1,0,1] neg_lo:[0,0,1] neg_hi:[0,0,1]
	ds_store_2addr_b32 v20, v8, v12 offset1:153
	ds_store_2addr_b32 v23, v9, v13 offset1:153
	ds_store_2addr_b32 v16, v10, v14 offset0:101 offset1:254
	ds_store_2addr_b32 v24, v11, v15 offset0:100 offset1:253
	s_and_saveexec_b32 s1, s0
	s_cbranch_execz .LBB0_17
; %bb.16:
	v_add_nc_u32_e32 v8, 0x198, v0
	s_delay_alu instid0(VALU_DEP_1) | instskip(NEXT) | instid1(VALU_DEP_1)
	v_and_b32_e32 v9, 0xffff, v8
	v_mul_u32_u24_e32 v9, 0x358b, v9
	s_delay_alu instid0(VALU_DEP_1) | instskip(NEXT) | instid1(VALU_DEP_1)
	v_lshrrev_b32_e32 v9, 21, v9
	v_mul_lo_u16 v9, 0x99, v9
	s_delay_alu instid0(VALU_DEP_1) | instskip(NEXT) | instid1(VALU_DEP_1)
	v_sub_nc_u16 v8, v8, v9
	v_and_b32_e32 v8, 0xffff, v8
	s_delay_alu instid0(VALU_DEP_1) | instskip(SKIP_2) | instid1(VALU_DEP_1)
	v_lshlrev_b32_e32 v8, 2, v8
	global_load_b32 v9, v8, s[4:5] offset:544
	v_add_nc_u32_e32 v8, 0, v8
	v_add_nc_u32_e32 v8, 0x800, v8
	s_wait_loadcnt 0x0
	v_lshrrev_b32_e32 v10, 16, v9
	s_delay_alu instid0(VALU_DEP_1) | instskip(SKIP_1) | instid1(VALU_DEP_2)
	v_mul_f16_e32 v11, v22, v10
	v_mul_f16_e32 v10, v21, v10
	v_fma_f16 v11, v21, v9, -v11
	s_delay_alu instid0(VALU_DEP_2) | instskip(NEXT) | instid1(VALU_DEP_2)
	v_fmac_f16_e32 v10, v22, v9
	v_sub_f16_e32 v9, v17, v11
	s_delay_alu instid0(VALU_DEP_2) | instskip(NEXT) | instid1(VALU_DEP_2)
	v_sub_f16_e32 v10, v18, v10
	v_fma_f16 v11, v17, 2.0, -v9
	s_delay_alu instid0(VALU_DEP_2) | instskip(SKIP_1) | instid1(VALU_DEP_2)
	v_fma_f16 v12, v18, 2.0, -v10
	v_pack_b32_f16 v9, v9, v10
	v_pack_b32_f16 v10, v11, v12
	ds_store_2addr_b32 v8, v10, v9 offset0:100 offset1:253
.LBB0_17:
	s_wait_alu 0xfffe
	s_or_b32 exec_lo, exec_lo, s1
	v_dual_mov_b32 v9, v1 :: v_dual_lshlrev_b32 v8, 1, v0
	v_dual_mov_b32 v11, v1 :: v_dual_lshlrev_b32 v10, 1, v19
	global_wb scope:SCOPE_SE
	s_wait_dscnt 0x0
	s_barrier_signal -1
	v_lshlrev_b64_e32 v[12:13], 2, v[8:9]
	s_barrier_wait -1
	v_lshlrev_b64_e32 v[9:10], 2, v[10:11]
	global_inv scope:SCOPE_SE
	v_add_nc_u32_e32 v19, 0x200, v20
	v_add_nc_u32_e32 v25, 0x800, v20
	v_add_co_u32 v11, s1, s4, v12
	s_wait_alu 0xf1ff
	v_add_co_ci_u32_e64 v12, s1, s5, v13, s1
	v_dual_mov_b32 v14, v1 :: v_dual_add_nc_u32 v13, 0x198, v8
	v_add_co_u32 v8, s1, s4, v9
	s_wait_alu 0xf1ff
	v_add_co_ci_u32_e64 v9, s1, s5, v10, s1
	s_delay_alu instid0(VALU_DEP_3)
	v_lshlrev_b64_e32 v[13:14], 2, v[13:14]
	s_clause 0x1
	global_load_b64 v[10:11], v[11:12], off offset:1156
	global_load_b64 v[8:9], v[8:9], off offset:1156
	v_add_co_u32 v12, s1, s4, v13
	s_wait_alu 0xf1ff
	v_add_co_ci_u32_e64 v13, s1, s5, v14, s1
	v_cmp_ne_u32_e64 s1, 0, v0
	global_load_b64 v[12:13], v[12:13], off offset:1156
	ds_load_2addr_b32 v[14:15], v20 offset1:102
	ds_load_b32 v1, v20 offset:3264
	ds_load_2addr_b32 v[17:18], v16 offset0:152 offset1:254
	ds_load_2addr_b32 v[21:22], v19 offset0:76 offset1:178
	;; [unrolled: 1-line block ×3, first 2 shown]
	global_wb scope:SCOPE_SE
	s_wait_loadcnt_dscnt 0x0
	s_barrier_signal -1
	s_barrier_wait -1
	global_inv scope:SCOPE_SE
	v_lshrrev_b32_e32 v26, 16, v14
	v_lshrrev_b32_e32 v28, 16, v1
	;; [unrolled: 1-line block ×13, first 2 shown]
	s_delay_alu instid0(VALU_DEP_4)
	v_mul_f16_e32 v39, v34, v32
	v_mul_f16_e32 v34, v34, v22
	;; [unrolled: 1-line block ×7, first 2 shown]
	v_lshrrev_b32_e32 v43, 16, v12
	v_lshrrev_b32_e32 v44, 16, v13
	v_mul_f16_e32 v38, v38, v24
	v_fma_f16 v22, v10, v22, -v39
	v_fmac_f16_e32 v34, v10, v32
	v_fma_f16 v10, v11, v23, -v40
	v_fmac_f16_e32 v36, v11, v33
	;; [unrolled: 2-line block ×3, first 2 shown]
	v_fma_f16 v8, v9, v24, -v42
	v_mul_f16_e32 v17, v43, v30
	v_mul_f16_e32 v23, v43, v18
	;; [unrolled: 1-line block ×4, first 2 shown]
	v_fmac_f16_e32 v38, v9, v35
	v_fma_f16 v9, v12, v18, -v17
	v_fmac_f16_e32 v23, v12, v30
	v_fma_f16 v1, v1, v13, -v24
	v_fmac_f16_e32 v29, v28, v13
	v_add_f16_e32 v24, v34, v36
	v_add_f16_e32 v28, v15, v11
	;; [unrolled: 1-line block ×5, first 2 shown]
	v_sub_f16_e32 v17, v34, v36
	v_add_f16_e32 v18, v26, v34
	v_add_f16_e32 v34, v37, v38
	;; [unrolled: 1-line block ×3, first 2 shown]
	v_sub_f16_e32 v11, v11, v8
	v_fmac_f16_e32 v26, -0.5, v24
	v_add_f16_e32 v8, v28, v8
	v_fmac_f16_e32 v15, -0.5, v30
	v_add_f16_e32 v24, v9, v1
	v_sub_f16_e32 v28, v23, v29
	v_add_f16_e32 v30, v31, v23
	v_add_f16_e32 v23, v23, v29
	v_sub_f16_e32 v22, v22, v10
	v_sub_f16_e32 v32, v37, v38
	v_add_f16_e32 v10, v12, v10
	v_fma_f16 v12, -0.5, v13, v14
	v_fmac_f16_e32 v27, -0.5, v34
	v_add_f16_e32 v13, v18, v36
	v_add_f16_e32 v18, v21, v9
	;; [unrolled: 1-line block ×3, first 2 shown]
	v_sub_f16_e32 v9, v9, v1
	v_fmac_f16_e32 v21, -0.5, v24
	v_fmac_f16_e32 v31, -0.5, v23
	v_fmamk_f16 v33, v17, 0x3aee, v12
	v_fmac_f16_e32 v12, 0xbaee, v17
	v_fmamk_f16 v17, v22, 0xbaee, v26
	v_fmac_f16_e32 v26, 0x3aee, v22
	;; [unrolled: 2-line block ×4, first 2 shown]
	v_add_f16_e32 v1, v18, v1
	v_add_f16_e32 v11, v30, v29
	v_pack_b32_f16 v10, v10, v13
	v_pack_b32_f16 v8, v8, v14
	v_fmamk_f16 v13, v28, 0x3aee, v21
	v_fmamk_f16 v14, v9, 0xbaee, v31
	v_fmac_f16_e32 v21, 0xbaee, v28
	v_fmac_f16_e32 v31, 0x3aee, v9
	v_pack_b32_f16 v12, v12, v26
	v_pack_b32_f16 v15, v15, v27
	v_pack_b32_f16 v9, v33, v17
	v_pack_b32_f16 v1, v1, v11
	v_pack_b32_f16 v17, v22, v32
	v_pack_b32_f16 v11, v13, v14
	v_pack_b32_f16 v13, v21, v31
	ds_store_2addr_b32 v20, v10, v8 offset1:102
	ds_store_2addr_b32 v25, v12, v15 offset0:100 offset1:202
	ds_store_2addr_b32 v19, v1, v9 offset0:76 offset1:178
	;; [unrolled: 1-line block ×3, first 2 shown]
	ds_store_b32 v20, v13 offset:3264
	global_wb scope:SCOPE_SE
	s_wait_dscnt 0x0
	s_barrier_signal -1
	s_barrier_wait -1
	global_inv scope:SCOPE_SE
	ds_load_b32 v11, v20
	v_lshlrev_b32_e32 v1, 2, v0
                                        ; implicit-def: $vgpr10
                                        ; implicit-def: $vgpr9
                                        ; implicit-def: $vgpr8
	s_delay_alu instid0(VALU_DEP_1)
	v_sub_nc_u32_e32 v1, 0, v1
	s_wait_dscnt 0x0
	v_lshrrev_b32_e32 v12, 16, v11
	s_and_saveexec_b32 s2, s1
	s_wait_alu 0xfffe
	s_xor_b32 s1, exec_lo, s2
	s_cbranch_execz .LBB0_19
; %bb.18:
	global_load_b32 v6, v[6:7], off offset:3604
	ds_load_b32 v7, v1 offset:3672
	s_wait_dscnt 0x0
	v_lshrrev_b32_e32 v8, 16, v7
	v_sub_f16_e32 v9, v11, v7
	v_add_f16_e32 v7, v7, v11
	s_delay_alu instid0(VALU_DEP_3) | instskip(SKIP_1) | instid1(VALU_DEP_4)
	v_add_f16_e32 v10, v8, v12
	v_sub_f16_e32 v8, v12, v8
	v_mul_f16_e32 v12, 0.5, v9
	s_delay_alu instid0(VALU_DEP_3) | instskip(NEXT) | instid1(VALU_DEP_3)
	v_mul_f16_e32 v10, 0.5, v10
	v_mul_f16_e32 v8, 0.5, v8
	s_wait_loadcnt 0x0
	v_lshrrev_b32_e32 v9, 16, v6
	s_delay_alu instid0(VALU_DEP_1) | instskip(NEXT) | instid1(VALU_DEP_3)
	v_mul_f16_e32 v11, v9, v12
	v_fma_f16 v13, v10, v9, v8
	s_delay_alu instid0(VALU_DEP_2) | instskip(SKIP_2) | instid1(VALU_DEP_4)
	v_fma_f16 v14, 0.5, v7, v11
	v_fma_f16 v7, v7, 0.5, -v11
	v_fma_f16 v11, v10, v9, -v8
	v_fma_f16 v8, -v6, v12, v13
	s_delay_alu instid0(VALU_DEP_4) | instskip(NEXT) | instid1(VALU_DEP_4)
	v_fmac_f16_e32 v14, v6, v10
	v_fma_f16 v9, -v6, v10, v7
	s_delay_alu instid0(VALU_DEP_4)
	v_fma_f16 v10, -v6, v12, v11
                                        ; implicit-def: $vgpr12
                                        ; implicit-def: $vgpr11
	ds_store_b16 v20, v14
.LBB0_19:
	s_wait_alu 0xfffe
	s_and_not1_saveexec_b32 s1, s1
	s_cbranch_execz .LBB0_21
; %bb.20:
	v_mov_b32_e32 v8, 0
	v_add_f16_e32 v7, v12, v11
	v_sub_f16_e32 v9, v11, v12
	v_mov_b32_e32 v10, 0
	ds_load_u16 v6, v8 offset:1838
	s_wait_dscnt 0x0
	v_xor_b32_e32 v6, 0x8000, v6
	ds_store_b16 v20, v7
	ds_store_b16 v8, v6 offset:1838
.LBB0_21:
	s_wait_alu 0xfffe
	s_or_b32 exec_lo, exec_lo, s1
	s_add_nc_u64 s[2:3], s[4:5], 0xe14
	v_perm_b32 v9, v10, v9, 0x5040100
	s_wait_alu 0xfffe
	v_add_co_u32 v6, s1, s2, v4
	s_wait_alu 0xf1ff
	v_add_co_ci_u32_e64 v7, s1, s3, v5, s1
	s_clause 0x2
	global_load_b32 v11, v[6:7], off offset:408
	global_load_b32 v12, v[6:7], off offset:816
	;; [unrolled: 1-line block ×3, first 2 shown]
	ds_store_b16 v20, v8 offset:2
	ds_store_b32 v1, v9 offset:3672
	ds_load_b32 v8, v1 offset:3264
	ds_load_b32 v9, v20 offset:408
	s_wait_dscnt 0x0
	v_pk_add_f16 v10, v9, v8 neg_lo:[0,1] neg_hi:[0,1]
	v_pk_add_f16 v8, v9, v8
	s_delay_alu instid0(VALU_DEP_1) | instskip(SKIP_1) | instid1(VALU_DEP_2)
	v_bfi_b32 v9, 0xffff, v10, v8
	v_bfi_b32 v8, 0xffff, v8, v10
	v_pk_mul_f16 v9, v9, 0.5 op_sel_hi:[1,0]
	s_delay_alu instid0(VALU_DEP_2) | instskip(SKIP_1) | instid1(VALU_DEP_1)
	v_pk_mul_f16 v8, v8, 0.5 op_sel_hi:[1,0]
	s_wait_loadcnt 0x2
	v_pk_fma_f16 v10, v11, v9, v8 op_sel:[1,0,0]
	v_pk_mul_f16 v14, v11, v9 op_sel_hi:[0,1]
	v_pk_fma_f16 v15, v11, v9, v8 op_sel:[1,0,0] neg_lo:[1,0,0] neg_hi:[1,0,0]
	v_pk_fma_f16 v8, v11, v9, v8 op_sel:[1,0,0] neg_lo:[0,0,1] neg_hi:[0,0,1]
	s_delay_alu instid0(VALU_DEP_3) | instskip(SKIP_1) | instid1(VALU_DEP_4)
	v_pk_add_f16 v9, v10, v14 op_sel:[0,1] op_sel_hi:[1,0]
	v_pk_add_f16 v10, v10, v14 op_sel:[0,1] op_sel_hi:[1,0] neg_lo:[0,1] neg_hi:[0,1]
	v_pk_add_f16 v11, v15, v14 op_sel:[0,1] op_sel_hi:[1,0] neg_lo:[0,1] neg_hi:[0,1]
	s_delay_alu instid0(VALU_DEP_4) | instskip(NEXT) | instid1(VALU_DEP_3)
	v_pk_add_f16 v8, v8, v14 op_sel:[0,1] op_sel_hi:[1,0] neg_lo:[0,1] neg_hi:[0,1]
	v_bfi_b32 v9, 0xffff, v9, v10
	s_delay_alu instid0(VALU_DEP_2)
	v_bfi_b32 v8, 0xffff, v11, v8
	ds_store_b32 v20, v9 offset:408
	ds_store_b32 v1, v8 offset:3264
	ds_load_b32 v8, v20 offset:816
	ds_load_b32 v9, v1 offset:2856
	s_wait_dscnt 0x0
	v_pk_add_f16 v10, v8, v9 neg_lo:[0,1] neg_hi:[0,1]
	v_pk_add_f16 v8, v8, v9
	s_delay_alu instid0(VALU_DEP_1) | instskip(SKIP_1) | instid1(VALU_DEP_2)
	v_bfi_b32 v9, 0xffff, v10, v8
	v_bfi_b32 v8, 0xffff, v8, v10
	v_pk_mul_f16 v9, v9, 0.5 op_sel_hi:[1,0]
	s_delay_alu instid0(VALU_DEP_2) | instskip(SKIP_1) | instid1(VALU_DEP_2)
	v_pk_mul_f16 v8, v8, 0.5 op_sel_hi:[1,0]
	s_wait_loadcnt 0x1
	v_pk_mul_f16 v11, v12, v9 op_sel_hi:[0,1]
	s_delay_alu instid0(VALU_DEP_2) | instskip(SKIP_2) | instid1(VALU_DEP_3)
	v_pk_fma_f16 v10, v12, v9, v8 op_sel:[1,0,0]
	v_pk_fma_f16 v14, v12, v9, v8 op_sel:[1,0,0] neg_lo:[1,0,0] neg_hi:[1,0,0]
	v_pk_fma_f16 v8, v12, v9, v8 op_sel:[1,0,0] neg_lo:[0,0,1] neg_hi:[0,0,1]
	v_pk_add_f16 v9, v10, v11 op_sel:[0,1] op_sel_hi:[1,0]
	v_pk_add_f16 v10, v10, v11 op_sel:[0,1] op_sel_hi:[1,0] neg_lo:[0,1] neg_hi:[0,1]
	s_delay_alu instid0(VALU_DEP_4) | instskip(NEXT) | instid1(VALU_DEP_4)
	v_pk_add_f16 v12, v14, v11 op_sel:[0,1] op_sel_hi:[1,0] neg_lo:[0,1] neg_hi:[0,1]
	v_pk_add_f16 v8, v8, v11 op_sel:[0,1] op_sel_hi:[1,0] neg_lo:[0,1] neg_hi:[0,1]
	s_delay_alu instid0(VALU_DEP_3) | instskip(NEXT) | instid1(VALU_DEP_2)
	v_bfi_b32 v9, 0xffff, v9, v10
	v_bfi_b32 v8, 0xffff, v12, v8
	ds_store_b32 v20, v9 offset:816
	ds_store_b32 v1, v8 offset:2856
	ds_load_b32 v8, v20 offset:1224
	ds_load_b32 v9, v1 offset:2448
	s_wait_dscnt 0x0
	v_pk_add_f16 v10, v8, v9 neg_lo:[0,1] neg_hi:[0,1]
	v_pk_add_f16 v8, v8, v9
	s_delay_alu instid0(VALU_DEP_1) | instskip(SKIP_1) | instid1(VALU_DEP_2)
	v_bfi_b32 v9, 0xffff, v10, v8
	v_bfi_b32 v8, 0xffff, v8, v10
	v_pk_mul_f16 v9, v9, 0.5 op_sel_hi:[1,0]
	s_delay_alu instid0(VALU_DEP_2) | instskip(SKIP_1) | instid1(VALU_DEP_2)
	v_pk_mul_f16 v8, v8, 0.5 op_sel_hi:[1,0]
	s_wait_loadcnt 0x0
	v_pk_mul_f16 v11, v13, v9 op_sel_hi:[0,1]
	s_delay_alu instid0(VALU_DEP_2) | instskip(SKIP_2) | instid1(VALU_DEP_3)
	v_pk_fma_f16 v10, v13, v9, v8 op_sel:[1,0,0]
	v_pk_fma_f16 v12, v13, v9, v8 op_sel:[1,0,0] neg_lo:[1,0,0] neg_hi:[1,0,0]
	v_pk_fma_f16 v8, v13, v9, v8 op_sel:[1,0,0] neg_lo:[0,0,1] neg_hi:[0,0,1]
	v_pk_add_f16 v9, v10, v11 op_sel:[0,1] op_sel_hi:[1,0]
	v_pk_add_f16 v10, v10, v11 op_sel:[0,1] op_sel_hi:[1,0] neg_lo:[0,1] neg_hi:[0,1]
	s_delay_alu instid0(VALU_DEP_4) | instskip(NEXT) | instid1(VALU_DEP_4)
	v_pk_add_f16 v12, v12, v11 op_sel:[0,1] op_sel_hi:[1,0] neg_lo:[0,1] neg_hi:[0,1]
	v_pk_add_f16 v8, v8, v11 op_sel:[0,1] op_sel_hi:[1,0] neg_lo:[0,1] neg_hi:[0,1]
	s_delay_alu instid0(VALU_DEP_3) | instskip(NEXT) | instid1(VALU_DEP_2)
	v_bfi_b32 v9, 0xffff, v9, v10
	v_bfi_b32 v8, 0xffff, v12, v8
	ds_store_b32 v20, v9 offset:1224
	ds_store_b32 v1, v8 offset:2448
	s_and_saveexec_b32 s1, s0
	s_cbranch_execz .LBB0_23
; %bb.22:
	global_load_b32 v6, v[6:7], off offset:1632
	ds_load_b32 v7, v20 offset:1632
	ds_load_b32 v8, v1 offset:2040
	s_wait_dscnt 0x0
	v_pk_add_f16 v9, v7, v8 neg_lo:[0,1] neg_hi:[0,1]
	v_pk_add_f16 v7, v7, v8
	s_delay_alu instid0(VALU_DEP_1) | instskip(SKIP_1) | instid1(VALU_DEP_2)
	v_bfi_b32 v8, 0xffff, v9, v7
	v_bfi_b32 v7, 0xffff, v7, v9
	v_pk_mul_f16 v8, v8, 0.5 op_sel_hi:[1,0]
	s_delay_alu instid0(VALU_DEP_2) | instskip(SKIP_1) | instid1(VALU_DEP_1)
	v_pk_mul_f16 v7, v7, 0.5 op_sel_hi:[1,0]
	s_wait_loadcnt 0x0
	v_pk_fma_f16 v9, v6, v8, v7 op_sel:[1,0,0]
	v_pk_mul_f16 v10, v6, v8 op_sel_hi:[0,1]
	v_pk_fma_f16 v11, v6, v8, v7 op_sel:[1,0,0] neg_lo:[1,0,0] neg_hi:[1,0,0]
	v_pk_fma_f16 v6, v6, v8, v7 op_sel:[1,0,0] neg_lo:[0,0,1] neg_hi:[0,0,1]
	s_delay_alu instid0(VALU_DEP_3) | instskip(SKIP_1) | instid1(VALU_DEP_4)
	v_pk_add_f16 v7, v9, v10 op_sel:[0,1] op_sel_hi:[1,0]
	v_pk_add_f16 v8, v9, v10 op_sel:[0,1] op_sel_hi:[1,0] neg_lo:[0,1] neg_hi:[0,1]
	v_pk_add_f16 v9, v11, v10 op_sel:[0,1] op_sel_hi:[1,0] neg_lo:[0,1] neg_hi:[0,1]
	s_delay_alu instid0(VALU_DEP_4) | instskip(NEXT) | instid1(VALU_DEP_3)
	v_pk_add_f16 v6, v6, v10 op_sel:[0,1] op_sel_hi:[1,0] neg_lo:[0,1] neg_hi:[0,1]
	v_bfi_b32 v7, 0xffff, v7, v8
	s_delay_alu instid0(VALU_DEP_2)
	v_bfi_b32 v6, 0xffff, v9, v6
	ds_store_b32 v20, v7 offset:1632
	ds_store_b32 v1, v6 offset:2040
.LBB0_23:
	s_wait_alu 0xfffe
	s_or_b32 exec_lo, exec_lo, s1
	global_wb scope:SCOPE_SE
	s_wait_dscnt 0x0
	s_barrier_signal -1
	s_barrier_wait -1
	global_inv scope:SCOPE_SE
	s_and_saveexec_b32 s0, vcc_lo
	s_cbranch_execz .LBB0_26
; %bb.24:
	v_add_nc_u32_e32 v1, 0x200, v20
	v_add_nc_u32_e32 v10, 0x400, v20
	;; [unrolled: 1-line block ×3, first 2 shown]
	ds_load_2addr_b32 v[6:7], v20 offset1:102
	ds_load_2addr_b32 v[8:9], v1 offset0:76 offset1:178
	ds_load_2addr_b32 v[10:11], v10 offset0:152 offset1:254
	ds_load_b32 v14, v20 offset:3264
	ds_load_2addr_b32 v[12:13], v12 offset0:100 offset1:202
	v_add_co_u32 v1, vcc_lo, s8, v2
	s_wait_alu 0xfffd
	v_add_co_ci_u32_e32 v2, vcc_lo, s9, v3, vcc_lo
	s_delay_alu instid0(VALU_DEP_2) | instskip(SKIP_1) | instid1(VALU_DEP_2)
	v_add_co_u32 v3, vcc_lo, v1, v4
	s_wait_alu 0xfffd
	v_add_co_ci_u32_e32 v4, vcc_lo, v2, v5, vcc_lo
	v_cmp_eq_u32_e32 vcc_lo, 0x65, v0
	s_wait_dscnt 0x4
	s_clause 0x1
	global_store_b32 v[3:4], v6, off
	global_store_b32 v[3:4], v7, off offset:408
	s_wait_dscnt 0x3
	s_clause 0x1
	global_store_b32 v[3:4], v8, off offset:816
	global_store_b32 v[3:4], v9, off offset:1224
	s_wait_dscnt 0x2
	s_clause 0x1
	global_store_b32 v[3:4], v10, off offset:1632
	;; [unrolled: 4-line block ×3, first 2 shown]
	global_store_b32 v[3:4], v13, off offset:2856
	global_store_b32 v[3:4], v14, off offset:3264
	s_and_b32 exec_lo, exec_lo, vcc_lo
	s_cbranch_execz .LBB0_26
; %bb.25:
	v_mov_b32_e32 v0, 0
	ds_load_b32 v0, v0 offset:3672
	s_wait_dscnt 0x0
	global_store_b32 v[1:2], v0, off offset:3672
.LBB0_26:
	s_nop 0
	s_sendmsg sendmsg(MSG_DEALLOC_VGPRS)
	s_endpgm
	.section	.rodata,"a",@progbits
	.p2align	6, 0x0
	.amdhsa_kernel fft_rtc_fwd_len918_factors_17_9_2_3_wgs_102_tpt_102_halfLds_half_ip_CI_unitstride_sbrr_R2C_dirReg
		.amdhsa_group_segment_fixed_size 0
		.amdhsa_private_segment_fixed_size 0
		.amdhsa_kernarg_size 88
		.amdhsa_user_sgpr_count 2
		.amdhsa_user_sgpr_dispatch_ptr 0
		.amdhsa_user_sgpr_queue_ptr 0
		.amdhsa_user_sgpr_kernarg_segment_ptr 1
		.amdhsa_user_sgpr_dispatch_id 0
		.amdhsa_user_sgpr_private_segment_size 0
		.amdhsa_wavefront_size32 1
		.amdhsa_uses_dynamic_stack 0
		.amdhsa_enable_private_segment 0
		.amdhsa_system_sgpr_workgroup_id_x 1
		.amdhsa_system_sgpr_workgroup_id_y 0
		.amdhsa_system_sgpr_workgroup_id_z 0
		.amdhsa_system_sgpr_workgroup_info 0
		.amdhsa_system_vgpr_workitem_id 0
		.amdhsa_next_free_vgpr 166
		.amdhsa_next_free_sgpr 32
		.amdhsa_reserve_vcc 1
		.amdhsa_float_round_mode_32 0
		.amdhsa_float_round_mode_16_64 0
		.amdhsa_float_denorm_mode_32 3
		.amdhsa_float_denorm_mode_16_64 3
		.amdhsa_fp16_overflow 0
		.amdhsa_workgroup_processor_mode 1
		.amdhsa_memory_ordered 1
		.amdhsa_forward_progress 0
		.amdhsa_round_robin_scheduling 0
		.amdhsa_exception_fp_ieee_invalid_op 0
		.amdhsa_exception_fp_denorm_src 0
		.amdhsa_exception_fp_ieee_div_zero 0
		.amdhsa_exception_fp_ieee_overflow 0
		.amdhsa_exception_fp_ieee_underflow 0
		.amdhsa_exception_fp_ieee_inexact 0
		.amdhsa_exception_int_div_zero 0
	.end_amdhsa_kernel
	.text
.Lfunc_end0:
	.size	fft_rtc_fwd_len918_factors_17_9_2_3_wgs_102_tpt_102_halfLds_half_ip_CI_unitstride_sbrr_R2C_dirReg, .Lfunc_end0-fft_rtc_fwd_len918_factors_17_9_2_3_wgs_102_tpt_102_halfLds_half_ip_CI_unitstride_sbrr_R2C_dirReg
                                        ; -- End function
	.section	.AMDGPU.csdata,"",@progbits
; Kernel info:
; codeLenInByte = 11852
; NumSgprs: 34
; NumVgprs: 166
; ScratchSize: 0
; MemoryBound: 0
; FloatMode: 240
; IeeeMode: 1
; LDSByteSize: 0 bytes/workgroup (compile time only)
; SGPRBlocks: 4
; VGPRBlocks: 20
; NumSGPRsForWavesPerEU: 34
; NumVGPRsForWavesPerEU: 166
; Occupancy: 9
; WaveLimiterHint : 1
; COMPUTE_PGM_RSRC2:SCRATCH_EN: 0
; COMPUTE_PGM_RSRC2:USER_SGPR: 2
; COMPUTE_PGM_RSRC2:TRAP_HANDLER: 0
; COMPUTE_PGM_RSRC2:TGID_X_EN: 1
; COMPUTE_PGM_RSRC2:TGID_Y_EN: 0
; COMPUTE_PGM_RSRC2:TGID_Z_EN: 0
; COMPUTE_PGM_RSRC2:TIDIG_COMP_CNT: 0
	.text
	.p2alignl 7, 3214868480
	.fill 96, 4, 3214868480
	.type	__hip_cuid_bb5f6cd235290f43,@object ; @__hip_cuid_bb5f6cd235290f43
	.section	.bss,"aw",@nobits
	.globl	__hip_cuid_bb5f6cd235290f43
__hip_cuid_bb5f6cd235290f43:
	.byte	0                               ; 0x0
	.size	__hip_cuid_bb5f6cd235290f43, 1

	.ident	"AMD clang version 19.0.0git (https://github.com/RadeonOpenCompute/llvm-project roc-6.4.0 25133 c7fe45cf4b819c5991fe208aaa96edf142730f1d)"
	.section	".note.GNU-stack","",@progbits
	.addrsig
	.addrsig_sym __hip_cuid_bb5f6cd235290f43
	.amdgpu_metadata
---
amdhsa.kernels:
  - .args:
      - .actual_access:  read_only
        .address_space:  global
        .offset:         0
        .size:           8
        .value_kind:     global_buffer
      - .offset:         8
        .size:           8
        .value_kind:     by_value
      - .actual_access:  read_only
        .address_space:  global
        .offset:         16
        .size:           8
        .value_kind:     global_buffer
      - .actual_access:  read_only
        .address_space:  global
        .offset:         24
        .size:           8
        .value_kind:     global_buffer
      - .offset:         32
        .size:           8
        .value_kind:     by_value
      - .actual_access:  read_only
        .address_space:  global
        .offset:         40
        .size:           8
        .value_kind:     global_buffer
      - .actual_access:  read_only
        .address_space:  global
        .offset:         48
        .size:           8
        .value_kind:     global_buffer
      - .offset:         56
        .size:           4
        .value_kind:     by_value
      - .actual_access:  read_only
        .address_space:  global
        .offset:         64
        .size:           8
        .value_kind:     global_buffer
      - .actual_access:  read_only
        .address_space:  global
        .offset:         72
        .size:           8
        .value_kind:     global_buffer
      - .address_space:  global
        .offset:         80
        .size:           8
        .value_kind:     global_buffer
    .group_segment_fixed_size: 0
    .kernarg_segment_align: 8
    .kernarg_segment_size: 88
    .language:       OpenCL C
    .language_version:
      - 2
      - 0
    .max_flat_workgroup_size: 102
    .name:           fft_rtc_fwd_len918_factors_17_9_2_3_wgs_102_tpt_102_halfLds_half_ip_CI_unitstride_sbrr_R2C_dirReg
    .private_segment_fixed_size: 0
    .sgpr_count:     34
    .sgpr_spill_count: 0
    .symbol:         fft_rtc_fwd_len918_factors_17_9_2_3_wgs_102_tpt_102_halfLds_half_ip_CI_unitstride_sbrr_R2C_dirReg.kd
    .uniform_work_group_size: 1
    .uses_dynamic_stack: false
    .vgpr_count:     166
    .vgpr_spill_count: 0
    .wavefront_size: 32
    .workgroup_processor_mode: 1
amdhsa.target:   amdgcn-amd-amdhsa--gfx1201
amdhsa.version:
  - 1
  - 2
...

	.end_amdgpu_metadata
